;; amdgpu-corpus repo=ROCm/hipCUB kind=compiled arch=gfx1250 opt=O3
	.amdgcn_target "amdgcn-amd-amdhsa--gfx1250"
	.amdhsa_code_object_version 6
	.section	.text._Z6kernelI6offsetiLj256ELj1ELj100EEvPKT0_PS1_,"axG",@progbits,_Z6kernelI6offsetiLj256ELj1ELj100EEvPKT0_PS1_,comdat
	.protected	_Z6kernelI6offsetiLj256ELj1ELj100EEvPKT0_PS1_ ; -- Begin function _Z6kernelI6offsetiLj256ELj1ELj100EEvPKT0_PS1_
	.globl	_Z6kernelI6offsetiLj256ELj1ELj100EEvPKT0_PS1_
	.p2align	8
	.type	_Z6kernelI6offsetiLj256ELj1ELj100EEvPKT0_PS1_,@function
_Z6kernelI6offsetiLj256ELj1ELj100EEvPKT0_PS1_: ; @_Z6kernelI6offsetiLj256ELj1ELj100EEvPKT0_PS1_
; %bb.0:
	s_load_b128 s[0:3], s[0:1], 0x0
	s_bfe_u32 s4, ttmp6, 0x4000c
	s_and_b32 s5, ttmp6, 15
	s_add_co_i32 s4, s4, 1
	s_getreg_b32 s6, hwreg(HW_REG_IB_STS2, 6, 4)
	s_mul_i32 s4, ttmp9, s4
	v_dual_mov_b32 v3, 0 :: v_dual_lshlrev_b32 v4, 2, v0
	s_add_co_i32 s5, s5, s4
	s_cmp_eq_u32 s6, 0
	v_cmp_gt_u32_e32 vcc_lo, 0xff, v0
	s_cselect_b32 s4, ttmp9, s5
	s_delay_alu instid0(SALU_CYCLE_1)
	v_lshl_or_b32 v2, s4, 8, v0
	s_wait_kmcnt 0x0
	global_load_b32 v1, v2, s[0:1] scale_offset
	s_wait_xcnt 0x0
	s_movk_i32 s0, 0x64
	s_branch .LBB0_2
.LBB0_1:                                ;   in Loop: Header=BB0_2 Depth=1
	s_or_b32 exec_lo, exec_lo, s1
	s_add_co_i32 s0, s0, -1
	s_wait_dscnt 0x0
	s_cmp_lg_u32 s0, 0
	s_barrier_signal -1
	s_barrier_wait -1
	s_cbranch_scc0 .LBB0_4
.LBB0_2:                                ; =>This Inner Loop Header: Depth=1
	s_wait_loadcnt 0x0
	ds_store_b32 v4, v1
	s_wait_dscnt 0x0
	s_barrier_signal -1
	s_barrier_wait -1
	s_and_saveexec_b32 s1, vcc_lo
	s_cbranch_execz .LBB0_1
; %bb.3:                                ;   in Loop: Header=BB0_2 Depth=1
	ds_load_b32 v1, v4 offset:4
	s_branch .LBB0_1
.LBB0_4:
	v_lshl_add_u64 v[2:3], v[2:3], 2, s[2:3]
	global_store_b32 v[2:3], v1, off
	s_endpgm
	.section	.rodata,"a",@progbits
	.p2align	6, 0x0
	.amdhsa_kernel _Z6kernelI6offsetiLj256ELj1ELj100EEvPKT0_PS1_
		.amdhsa_group_segment_fixed_size 1024
		.amdhsa_private_segment_fixed_size 0
		.amdhsa_kernarg_size 16
		.amdhsa_user_sgpr_count 2
		.amdhsa_user_sgpr_dispatch_ptr 0
		.amdhsa_user_sgpr_queue_ptr 0
		.amdhsa_user_sgpr_kernarg_segment_ptr 1
		.amdhsa_user_sgpr_dispatch_id 0
		.amdhsa_user_sgpr_kernarg_preload_length 0
		.amdhsa_user_sgpr_kernarg_preload_offset 0
		.amdhsa_user_sgpr_private_segment_size 0
		.amdhsa_wavefront_size32 1
		.amdhsa_uses_dynamic_stack 0
		.amdhsa_enable_private_segment 0
		.amdhsa_system_sgpr_workgroup_id_x 1
		.amdhsa_system_sgpr_workgroup_id_y 0
		.amdhsa_system_sgpr_workgroup_id_z 0
		.amdhsa_system_sgpr_workgroup_info 0
		.amdhsa_system_vgpr_workitem_id 0
		.amdhsa_next_free_vgpr 5
		.amdhsa_next_free_sgpr 7
		.amdhsa_named_barrier_count 0
		.amdhsa_reserve_vcc 1
		.amdhsa_float_round_mode_32 0
		.amdhsa_float_round_mode_16_64 0
		.amdhsa_float_denorm_mode_32 3
		.amdhsa_float_denorm_mode_16_64 3
		.amdhsa_fp16_overflow 0
		.amdhsa_memory_ordered 1
		.amdhsa_forward_progress 1
		.amdhsa_inst_pref_size 2
		.amdhsa_round_robin_scheduling 0
		.amdhsa_exception_fp_ieee_invalid_op 0
		.amdhsa_exception_fp_denorm_src 0
		.amdhsa_exception_fp_ieee_div_zero 0
		.amdhsa_exception_fp_ieee_overflow 0
		.amdhsa_exception_fp_ieee_underflow 0
		.amdhsa_exception_fp_ieee_inexact 0
		.amdhsa_exception_int_div_zero 0
	.end_amdhsa_kernel
	.section	.text._Z6kernelI6offsetiLj256ELj1ELj100EEvPKT0_PS1_,"axG",@progbits,_Z6kernelI6offsetiLj256ELj1ELj100EEvPKT0_PS1_,comdat
.Lfunc_end0:
	.size	_Z6kernelI6offsetiLj256ELj1ELj100EEvPKT0_PS1_, .Lfunc_end0-_Z6kernelI6offsetiLj256ELj1ELj100EEvPKT0_PS1_
                                        ; -- End function
	.set _Z6kernelI6offsetiLj256ELj1ELj100EEvPKT0_PS1_.num_vgpr, 5
	.set _Z6kernelI6offsetiLj256ELj1ELj100EEvPKT0_PS1_.num_agpr, 0
	.set _Z6kernelI6offsetiLj256ELj1ELj100EEvPKT0_PS1_.numbered_sgpr, 7
	.set _Z6kernelI6offsetiLj256ELj1ELj100EEvPKT0_PS1_.num_named_barrier, 0
	.set _Z6kernelI6offsetiLj256ELj1ELj100EEvPKT0_PS1_.private_seg_size, 0
	.set _Z6kernelI6offsetiLj256ELj1ELj100EEvPKT0_PS1_.uses_vcc, 1
	.set _Z6kernelI6offsetiLj256ELj1ELj100EEvPKT0_PS1_.uses_flat_scratch, 0
	.set _Z6kernelI6offsetiLj256ELj1ELj100EEvPKT0_PS1_.has_dyn_sized_stack, 0
	.set _Z6kernelI6offsetiLj256ELj1ELj100EEvPKT0_PS1_.has_recursion, 0
	.set _Z6kernelI6offsetiLj256ELj1ELj100EEvPKT0_PS1_.has_indirect_call, 0
	.section	.AMDGPU.csdata,"",@progbits
; Kernel info:
; codeLenInByte = 196
; TotalNumSgprs: 9
; NumVgprs: 5
; ScratchSize: 0
; MemoryBound: 0
; FloatMode: 240
; IeeeMode: 1
; LDSByteSize: 1024 bytes/workgroup (compile time only)
; SGPRBlocks: 0
; VGPRBlocks: 0
; NumSGPRsForWavesPerEU: 9
; NumVGPRsForWavesPerEU: 5
; NamedBarCnt: 0
; Occupancy: 16
; WaveLimiterHint : 0
; COMPUTE_PGM_RSRC2:SCRATCH_EN: 0
; COMPUTE_PGM_RSRC2:USER_SGPR: 2
; COMPUTE_PGM_RSRC2:TRAP_HANDLER: 0
; COMPUTE_PGM_RSRC2:TGID_X_EN: 1
; COMPUTE_PGM_RSRC2:TGID_Y_EN: 0
; COMPUTE_PGM_RSRC2:TGID_Z_EN: 0
; COMPUTE_PGM_RSRC2:TIDIG_COMP_CNT: 0
	.section	.text._Z6kernelI6offsetfLj256ELj1ELj100EEvPKT0_PS1_,"axG",@progbits,_Z6kernelI6offsetfLj256ELj1ELj100EEvPKT0_PS1_,comdat
	.protected	_Z6kernelI6offsetfLj256ELj1ELj100EEvPKT0_PS1_ ; -- Begin function _Z6kernelI6offsetfLj256ELj1ELj100EEvPKT0_PS1_
	.globl	_Z6kernelI6offsetfLj256ELj1ELj100EEvPKT0_PS1_
	.p2align	8
	.type	_Z6kernelI6offsetfLj256ELj1ELj100EEvPKT0_PS1_,@function
_Z6kernelI6offsetfLj256ELj1ELj100EEvPKT0_PS1_: ; @_Z6kernelI6offsetfLj256ELj1ELj100EEvPKT0_PS1_
; %bb.0:
	s_load_b128 s[0:3], s[0:1], 0x0
	s_bfe_u32 s4, ttmp6, 0x4000c
	s_and_b32 s5, ttmp6, 15
	s_add_co_i32 s4, s4, 1
	s_getreg_b32 s6, hwreg(HW_REG_IB_STS2, 6, 4)
	s_mul_i32 s4, ttmp9, s4
	v_dual_mov_b32 v3, 0 :: v_dual_lshlrev_b32 v4, 2, v0
	s_add_co_i32 s5, s5, s4
	s_cmp_eq_u32 s6, 0
	v_cmp_gt_u32_e32 vcc_lo, 0xff, v0
	s_cselect_b32 s4, ttmp9, s5
	s_delay_alu instid0(SALU_CYCLE_1)
	v_lshl_or_b32 v2, s4, 8, v0
	s_wait_kmcnt 0x0
	global_load_b32 v1, v2, s[0:1] scale_offset
	s_wait_xcnt 0x0
	s_movk_i32 s0, 0x64
	s_branch .LBB1_2
.LBB1_1:                                ;   in Loop: Header=BB1_2 Depth=1
	s_or_b32 exec_lo, exec_lo, s1
	s_add_co_i32 s0, s0, -1
	s_wait_dscnt 0x0
	s_cmp_lg_u32 s0, 0
	s_barrier_signal -1
	s_barrier_wait -1
	s_cbranch_scc0 .LBB1_4
.LBB1_2:                                ; =>This Inner Loop Header: Depth=1
	s_wait_loadcnt 0x0
	ds_store_b32 v4, v1
	s_wait_dscnt 0x0
	s_barrier_signal -1
	s_barrier_wait -1
	s_and_saveexec_b32 s1, vcc_lo
	s_cbranch_execz .LBB1_1
; %bb.3:                                ;   in Loop: Header=BB1_2 Depth=1
	ds_load_b32 v1, v4 offset:4
	s_branch .LBB1_1
.LBB1_4:
	v_lshl_add_u64 v[2:3], v[2:3], 2, s[2:3]
	global_store_b32 v[2:3], v1, off
	s_endpgm
	.section	.rodata,"a",@progbits
	.p2align	6, 0x0
	.amdhsa_kernel _Z6kernelI6offsetfLj256ELj1ELj100EEvPKT0_PS1_
		.amdhsa_group_segment_fixed_size 1024
		.amdhsa_private_segment_fixed_size 0
		.amdhsa_kernarg_size 16
		.amdhsa_user_sgpr_count 2
		.amdhsa_user_sgpr_dispatch_ptr 0
		.amdhsa_user_sgpr_queue_ptr 0
		.amdhsa_user_sgpr_kernarg_segment_ptr 1
		.amdhsa_user_sgpr_dispatch_id 0
		.amdhsa_user_sgpr_kernarg_preload_length 0
		.amdhsa_user_sgpr_kernarg_preload_offset 0
		.amdhsa_user_sgpr_private_segment_size 0
		.amdhsa_wavefront_size32 1
		.amdhsa_uses_dynamic_stack 0
		.amdhsa_enable_private_segment 0
		.amdhsa_system_sgpr_workgroup_id_x 1
		.amdhsa_system_sgpr_workgroup_id_y 0
		.amdhsa_system_sgpr_workgroup_id_z 0
		.amdhsa_system_sgpr_workgroup_info 0
		.amdhsa_system_vgpr_workitem_id 0
		.amdhsa_next_free_vgpr 5
		.amdhsa_next_free_sgpr 7
		.amdhsa_named_barrier_count 0
		.amdhsa_reserve_vcc 1
		.amdhsa_float_round_mode_32 0
		.amdhsa_float_round_mode_16_64 0
		.amdhsa_float_denorm_mode_32 3
		.amdhsa_float_denorm_mode_16_64 3
		.amdhsa_fp16_overflow 0
		.amdhsa_memory_ordered 1
		.amdhsa_forward_progress 1
		.amdhsa_inst_pref_size 2
		.amdhsa_round_robin_scheduling 0
		.amdhsa_exception_fp_ieee_invalid_op 0
		.amdhsa_exception_fp_denorm_src 0
		.amdhsa_exception_fp_ieee_div_zero 0
		.amdhsa_exception_fp_ieee_overflow 0
		.amdhsa_exception_fp_ieee_underflow 0
		.amdhsa_exception_fp_ieee_inexact 0
		.amdhsa_exception_int_div_zero 0
	.end_amdhsa_kernel
	.section	.text._Z6kernelI6offsetfLj256ELj1ELj100EEvPKT0_PS1_,"axG",@progbits,_Z6kernelI6offsetfLj256ELj1ELj100EEvPKT0_PS1_,comdat
.Lfunc_end1:
	.size	_Z6kernelI6offsetfLj256ELj1ELj100EEvPKT0_PS1_, .Lfunc_end1-_Z6kernelI6offsetfLj256ELj1ELj100EEvPKT0_PS1_
                                        ; -- End function
	.set _Z6kernelI6offsetfLj256ELj1ELj100EEvPKT0_PS1_.num_vgpr, 5
	.set _Z6kernelI6offsetfLj256ELj1ELj100EEvPKT0_PS1_.num_agpr, 0
	.set _Z6kernelI6offsetfLj256ELj1ELj100EEvPKT0_PS1_.numbered_sgpr, 7
	.set _Z6kernelI6offsetfLj256ELj1ELj100EEvPKT0_PS1_.num_named_barrier, 0
	.set _Z6kernelI6offsetfLj256ELj1ELj100EEvPKT0_PS1_.private_seg_size, 0
	.set _Z6kernelI6offsetfLj256ELj1ELj100EEvPKT0_PS1_.uses_vcc, 1
	.set _Z6kernelI6offsetfLj256ELj1ELj100EEvPKT0_PS1_.uses_flat_scratch, 0
	.set _Z6kernelI6offsetfLj256ELj1ELj100EEvPKT0_PS1_.has_dyn_sized_stack, 0
	.set _Z6kernelI6offsetfLj256ELj1ELj100EEvPKT0_PS1_.has_recursion, 0
	.set _Z6kernelI6offsetfLj256ELj1ELj100EEvPKT0_PS1_.has_indirect_call, 0
	.section	.AMDGPU.csdata,"",@progbits
; Kernel info:
; codeLenInByte = 196
; TotalNumSgprs: 9
; NumVgprs: 5
; ScratchSize: 0
; MemoryBound: 0
; FloatMode: 240
; IeeeMode: 1
; LDSByteSize: 1024 bytes/workgroup (compile time only)
; SGPRBlocks: 0
; VGPRBlocks: 0
; NumSGPRsForWavesPerEU: 9
; NumVGPRsForWavesPerEU: 5
; NamedBarCnt: 0
; Occupancy: 16
; WaveLimiterHint : 0
; COMPUTE_PGM_RSRC2:SCRATCH_EN: 0
; COMPUTE_PGM_RSRC2:USER_SGPR: 2
; COMPUTE_PGM_RSRC2:TRAP_HANDLER: 0
; COMPUTE_PGM_RSRC2:TGID_X_EN: 1
; COMPUTE_PGM_RSRC2:TGID_Y_EN: 0
; COMPUTE_PGM_RSRC2:TGID_Z_EN: 0
; COMPUTE_PGM_RSRC2:TIDIG_COMP_CNT: 0
	.section	.text._Z6kernelI6offsetdLj256ELj1ELj100EEvPKT0_PS1_,"axG",@progbits,_Z6kernelI6offsetdLj256ELj1ELj100EEvPKT0_PS1_,comdat
	.protected	_Z6kernelI6offsetdLj256ELj1ELj100EEvPKT0_PS1_ ; -- Begin function _Z6kernelI6offsetdLj256ELj1ELj100EEvPKT0_PS1_
	.globl	_Z6kernelI6offsetdLj256ELj1ELj100EEvPKT0_PS1_
	.p2align	8
	.type	_Z6kernelI6offsetdLj256ELj1ELj100EEvPKT0_PS1_,@function
_Z6kernelI6offsetdLj256ELj1ELj100EEvPKT0_PS1_: ; @_Z6kernelI6offsetdLj256ELj1ELj100EEvPKT0_PS1_
; %bb.0:
	s_load_b128 s[0:3], s[0:1], 0x0
	s_bfe_u32 s4, ttmp6, 0x4000c
	s_and_b32 s5, ttmp6, 15
	s_add_co_i32 s4, s4, 1
	s_getreg_b32 s6, hwreg(HW_REG_IB_STS2, 6, 4)
	s_mul_i32 s4, ttmp9, s4
	v_dual_mov_b32 v3, 0 :: v_dual_lshlrev_b32 v1, 3, v0
	s_add_co_i32 s5, s5, s4
	s_cmp_eq_u32 s6, 0
	v_cmp_gt_u32_e32 vcc_lo, 0xff, v0
	s_cselect_b32 s4, ttmp9, s5
	s_delay_alu instid0(SALU_CYCLE_1)
	v_lshl_or_b32 v2, s4, 8, v0
	s_wait_kmcnt 0x0
	global_load_b64 v[4:5], v2, s[0:1] scale_offset
	s_wait_xcnt 0x0
	s_movk_i32 s0, 0x64
	s_branch .LBB2_2
.LBB2_1:                                ;   in Loop: Header=BB2_2 Depth=1
	s_or_b32 exec_lo, exec_lo, s1
	s_add_co_i32 s0, s0, -1
	s_wait_dscnt 0x0
	s_cmp_lg_u32 s0, 0
	s_barrier_signal -1
	s_barrier_wait -1
	s_cbranch_scc0 .LBB2_4
.LBB2_2:                                ; =>This Inner Loop Header: Depth=1
	s_wait_loadcnt 0x0
	ds_store_b64 v1, v[4:5]
	s_wait_dscnt 0x0
	s_barrier_signal -1
	s_barrier_wait -1
	s_and_saveexec_b32 s1, vcc_lo
	s_cbranch_execz .LBB2_1
; %bb.3:                                ;   in Loop: Header=BB2_2 Depth=1
	ds_load_b64 v[4:5], v1 offset:8
	s_branch .LBB2_1
.LBB2_4:
	v_lshl_add_u64 v[0:1], v[2:3], 3, s[2:3]
	global_store_b64 v[0:1], v[4:5], off
	s_endpgm
	.section	.rodata,"a",@progbits
	.p2align	6, 0x0
	.amdhsa_kernel _Z6kernelI6offsetdLj256ELj1ELj100EEvPKT0_PS1_
		.amdhsa_group_segment_fixed_size 2048
		.amdhsa_private_segment_fixed_size 0
		.amdhsa_kernarg_size 16
		.amdhsa_user_sgpr_count 2
		.amdhsa_user_sgpr_dispatch_ptr 0
		.amdhsa_user_sgpr_queue_ptr 0
		.amdhsa_user_sgpr_kernarg_segment_ptr 1
		.amdhsa_user_sgpr_dispatch_id 0
		.amdhsa_user_sgpr_kernarg_preload_length 0
		.amdhsa_user_sgpr_kernarg_preload_offset 0
		.amdhsa_user_sgpr_private_segment_size 0
		.amdhsa_wavefront_size32 1
		.amdhsa_uses_dynamic_stack 0
		.amdhsa_enable_private_segment 0
		.amdhsa_system_sgpr_workgroup_id_x 1
		.amdhsa_system_sgpr_workgroup_id_y 0
		.amdhsa_system_sgpr_workgroup_id_z 0
		.amdhsa_system_sgpr_workgroup_info 0
		.amdhsa_system_vgpr_workitem_id 0
		.amdhsa_next_free_vgpr 6
		.amdhsa_next_free_sgpr 7
		.amdhsa_named_barrier_count 0
		.amdhsa_reserve_vcc 1
		.amdhsa_float_round_mode_32 0
		.amdhsa_float_round_mode_16_64 0
		.amdhsa_float_denorm_mode_32 3
		.amdhsa_float_denorm_mode_16_64 3
		.amdhsa_fp16_overflow 0
		.amdhsa_memory_ordered 1
		.amdhsa_forward_progress 1
		.amdhsa_inst_pref_size 2
		.amdhsa_round_robin_scheduling 0
		.amdhsa_exception_fp_ieee_invalid_op 0
		.amdhsa_exception_fp_denorm_src 0
		.amdhsa_exception_fp_ieee_div_zero 0
		.amdhsa_exception_fp_ieee_overflow 0
		.amdhsa_exception_fp_ieee_underflow 0
		.amdhsa_exception_fp_ieee_inexact 0
		.amdhsa_exception_int_div_zero 0
	.end_amdhsa_kernel
	.section	.text._Z6kernelI6offsetdLj256ELj1ELj100EEvPKT0_PS1_,"axG",@progbits,_Z6kernelI6offsetdLj256ELj1ELj100EEvPKT0_PS1_,comdat
.Lfunc_end2:
	.size	_Z6kernelI6offsetdLj256ELj1ELj100EEvPKT0_PS1_, .Lfunc_end2-_Z6kernelI6offsetdLj256ELj1ELj100EEvPKT0_PS1_
                                        ; -- End function
	.set _Z6kernelI6offsetdLj256ELj1ELj100EEvPKT0_PS1_.num_vgpr, 6
	.set _Z6kernelI6offsetdLj256ELj1ELj100EEvPKT0_PS1_.num_agpr, 0
	.set _Z6kernelI6offsetdLj256ELj1ELj100EEvPKT0_PS1_.numbered_sgpr, 7
	.set _Z6kernelI6offsetdLj256ELj1ELj100EEvPKT0_PS1_.num_named_barrier, 0
	.set _Z6kernelI6offsetdLj256ELj1ELj100EEvPKT0_PS1_.private_seg_size, 0
	.set _Z6kernelI6offsetdLj256ELj1ELj100EEvPKT0_PS1_.uses_vcc, 1
	.set _Z6kernelI6offsetdLj256ELj1ELj100EEvPKT0_PS1_.uses_flat_scratch, 0
	.set _Z6kernelI6offsetdLj256ELj1ELj100EEvPKT0_PS1_.has_dyn_sized_stack, 0
	.set _Z6kernelI6offsetdLj256ELj1ELj100EEvPKT0_PS1_.has_recursion, 0
	.set _Z6kernelI6offsetdLj256ELj1ELj100EEvPKT0_PS1_.has_indirect_call, 0
	.section	.AMDGPU.csdata,"",@progbits
; Kernel info:
; codeLenInByte = 200
; TotalNumSgprs: 9
; NumVgprs: 6
; ScratchSize: 0
; MemoryBound: 0
; FloatMode: 240
; IeeeMode: 1
; LDSByteSize: 2048 bytes/workgroup (compile time only)
; SGPRBlocks: 0
; VGPRBlocks: 0
; NumSGPRsForWavesPerEU: 9
; NumVGPRsForWavesPerEU: 6
; NamedBarCnt: 0
; Occupancy: 16
; WaveLimiterHint : 0
; COMPUTE_PGM_RSRC2:SCRATCH_EN: 0
; COMPUTE_PGM_RSRC2:USER_SGPR: 2
; COMPUTE_PGM_RSRC2:TRAP_HANDLER: 0
; COMPUTE_PGM_RSRC2:TGID_X_EN: 1
; COMPUTE_PGM_RSRC2:TGID_Y_EN: 0
; COMPUTE_PGM_RSRC2:TGID_Z_EN: 0
; COMPUTE_PGM_RSRC2:TIDIG_COMP_CNT: 0
	.section	.text._Z6kernelI6offsetaLj256ELj1ELj100EEvPKT0_PS1_,"axG",@progbits,_Z6kernelI6offsetaLj256ELj1ELj100EEvPKT0_PS1_,comdat
	.protected	_Z6kernelI6offsetaLj256ELj1ELj100EEvPKT0_PS1_ ; -- Begin function _Z6kernelI6offsetaLj256ELj1ELj100EEvPKT0_PS1_
	.globl	_Z6kernelI6offsetaLj256ELj1ELj100EEvPKT0_PS1_
	.p2align	8
	.type	_Z6kernelI6offsetaLj256ELj1ELj100EEvPKT0_PS1_,@function
_Z6kernelI6offsetaLj256ELj1ELj100EEvPKT0_PS1_: ; @_Z6kernelI6offsetaLj256ELj1ELj100EEvPKT0_PS1_
; %bb.0:
	s_load_b128 s[0:3], s[0:1], 0x0
	s_bfe_u32 s4, ttmp6, 0x4000c
	s_and_b32 s5, ttmp6, 15
	s_add_co_i32 s4, s4, 1
	s_getreg_b32 s6, hwreg(HW_REG_IB_STS2, 6, 4)
	s_mul_i32 s4, ttmp9, s4
	v_mov_b32_e32 v3, 0
	s_add_co_i32 s5, s5, s4
	s_cmp_eq_u32 s6, 0
	v_cmp_gt_u32_e32 vcc_lo, 0xff, v0
	s_cselect_b32 s4, ttmp9, s5
	s_delay_alu instid0(SALU_CYCLE_1)
	v_lshl_or_b32 v2, s4, 8, v0
	s_wait_kmcnt 0x0
	global_load_u8 v1, v2, s[0:1]
	s_wait_xcnt 0x0
	s_movk_i32 s0, 0x64
	s_branch .LBB3_2
.LBB3_1:                                ;   in Loop: Header=BB3_2 Depth=1
	s_or_b32 exec_lo, exec_lo, s1
	s_add_co_i32 s0, s0, -1
	s_wait_dscnt 0x0
	s_cmp_lg_u32 s0, 0
	s_barrier_signal -1
	s_barrier_wait -1
	s_cbranch_scc0 .LBB3_4
.LBB3_2:                                ; =>This Inner Loop Header: Depth=1
	s_wait_loadcnt 0x0
	ds_store_b8 v0, v1
	s_wait_dscnt 0x0
	s_barrier_signal -1
	s_barrier_wait -1
	s_and_saveexec_b32 s1, vcc_lo
	s_cbranch_execz .LBB3_1
; %bb.3:                                ;   in Loop: Header=BB3_2 Depth=1
	ds_load_u8 v1, v0 offset:1
	s_branch .LBB3_1
.LBB3_4:
	v_add_nc_u64_e32 v[2:3], s[2:3], v[2:3]
	global_store_b8 v[2:3], v1, off
	s_endpgm
	.section	.rodata,"a",@progbits
	.p2align	6, 0x0
	.amdhsa_kernel _Z6kernelI6offsetaLj256ELj1ELj100EEvPKT0_PS1_
		.amdhsa_group_segment_fixed_size 256
		.amdhsa_private_segment_fixed_size 0
		.amdhsa_kernarg_size 16
		.amdhsa_user_sgpr_count 2
		.amdhsa_user_sgpr_dispatch_ptr 0
		.amdhsa_user_sgpr_queue_ptr 0
		.amdhsa_user_sgpr_kernarg_segment_ptr 1
		.amdhsa_user_sgpr_dispatch_id 0
		.amdhsa_user_sgpr_kernarg_preload_length 0
		.amdhsa_user_sgpr_kernarg_preload_offset 0
		.amdhsa_user_sgpr_private_segment_size 0
		.amdhsa_wavefront_size32 1
		.amdhsa_uses_dynamic_stack 0
		.amdhsa_enable_private_segment 0
		.amdhsa_system_sgpr_workgroup_id_x 1
		.amdhsa_system_sgpr_workgroup_id_y 0
		.amdhsa_system_sgpr_workgroup_id_z 0
		.amdhsa_system_sgpr_workgroup_info 0
		.amdhsa_system_vgpr_workitem_id 0
		.amdhsa_next_free_vgpr 4
		.amdhsa_next_free_sgpr 7
		.amdhsa_named_barrier_count 0
		.amdhsa_reserve_vcc 1
		.amdhsa_float_round_mode_32 0
		.amdhsa_float_round_mode_16_64 0
		.amdhsa_float_denorm_mode_32 3
		.amdhsa_float_denorm_mode_16_64 3
		.amdhsa_fp16_overflow 0
		.amdhsa_memory_ordered 1
		.amdhsa_forward_progress 1
		.amdhsa_inst_pref_size 2
		.amdhsa_round_robin_scheduling 0
		.amdhsa_exception_fp_ieee_invalid_op 0
		.amdhsa_exception_fp_denorm_src 0
		.amdhsa_exception_fp_ieee_div_zero 0
		.amdhsa_exception_fp_ieee_overflow 0
		.amdhsa_exception_fp_ieee_underflow 0
		.amdhsa_exception_fp_ieee_inexact 0
		.amdhsa_exception_int_div_zero 0
	.end_amdhsa_kernel
	.section	.text._Z6kernelI6offsetaLj256ELj1ELj100EEvPKT0_PS1_,"axG",@progbits,_Z6kernelI6offsetaLj256ELj1ELj100EEvPKT0_PS1_,comdat
.Lfunc_end3:
	.size	_Z6kernelI6offsetaLj256ELj1ELj100EEvPKT0_PS1_, .Lfunc_end3-_Z6kernelI6offsetaLj256ELj1ELj100EEvPKT0_PS1_
                                        ; -- End function
	.set _Z6kernelI6offsetaLj256ELj1ELj100EEvPKT0_PS1_.num_vgpr, 4
	.set _Z6kernelI6offsetaLj256ELj1ELj100EEvPKT0_PS1_.num_agpr, 0
	.set _Z6kernelI6offsetaLj256ELj1ELj100EEvPKT0_PS1_.numbered_sgpr, 7
	.set _Z6kernelI6offsetaLj256ELj1ELj100EEvPKT0_PS1_.num_named_barrier, 0
	.set _Z6kernelI6offsetaLj256ELj1ELj100EEvPKT0_PS1_.private_seg_size, 0
	.set _Z6kernelI6offsetaLj256ELj1ELj100EEvPKT0_PS1_.uses_vcc, 1
	.set _Z6kernelI6offsetaLj256ELj1ELj100EEvPKT0_PS1_.uses_flat_scratch, 0
	.set _Z6kernelI6offsetaLj256ELj1ELj100EEvPKT0_PS1_.has_dyn_sized_stack, 0
	.set _Z6kernelI6offsetaLj256ELj1ELj100EEvPKT0_PS1_.has_recursion, 0
	.set _Z6kernelI6offsetaLj256ELj1ELj100EEvPKT0_PS1_.has_indirect_call, 0
	.section	.AMDGPU.csdata,"",@progbits
; Kernel info:
; codeLenInByte = 188
; TotalNumSgprs: 9
; NumVgprs: 4
; ScratchSize: 0
; MemoryBound: 0
; FloatMode: 240
; IeeeMode: 1
; LDSByteSize: 256 bytes/workgroup (compile time only)
; SGPRBlocks: 0
; VGPRBlocks: 0
; NumSGPRsForWavesPerEU: 9
; NumVGPRsForWavesPerEU: 4
; NamedBarCnt: 0
; Occupancy: 16
; WaveLimiterHint : 0
; COMPUTE_PGM_RSRC2:SCRATCH_EN: 0
; COMPUTE_PGM_RSRC2:USER_SGPR: 2
; COMPUTE_PGM_RSRC2:TRAP_HANDLER: 0
; COMPUTE_PGM_RSRC2:TGID_X_EN: 1
; COMPUTE_PGM_RSRC2:TGID_Y_EN: 0
; COMPUTE_PGM_RSRC2:TGID_Z_EN: 0
; COMPUTE_PGM_RSRC2:TIDIG_COMP_CNT: 0
	.section	.text._Z6kernelI6offsetxLj256ELj1ELj100EEvPKT0_PS1_,"axG",@progbits,_Z6kernelI6offsetxLj256ELj1ELj100EEvPKT0_PS1_,comdat
	.protected	_Z6kernelI6offsetxLj256ELj1ELj100EEvPKT0_PS1_ ; -- Begin function _Z6kernelI6offsetxLj256ELj1ELj100EEvPKT0_PS1_
	.globl	_Z6kernelI6offsetxLj256ELj1ELj100EEvPKT0_PS1_
	.p2align	8
	.type	_Z6kernelI6offsetxLj256ELj1ELj100EEvPKT0_PS1_,@function
_Z6kernelI6offsetxLj256ELj1ELj100EEvPKT0_PS1_: ; @_Z6kernelI6offsetxLj256ELj1ELj100EEvPKT0_PS1_
; %bb.0:
	s_load_b128 s[0:3], s[0:1], 0x0
	s_bfe_u32 s4, ttmp6, 0x4000c
	s_and_b32 s5, ttmp6, 15
	s_add_co_i32 s4, s4, 1
	s_getreg_b32 s6, hwreg(HW_REG_IB_STS2, 6, 4)
	s_mul_i32 s4, ttmp9, s4
	v_dual_mov_b32 v3, 0 :: v_dual_lshlrev_b32 v1, 3, v0
	s_add_co_i32 s5, s5, s4
	s_cmp_eq_u32 s6, 0
	v_cmp_gt_u32_e32 vcc_lo, 0xff, v0
	s_cselect_b32 s4, ttmp9, s5
	s_delay_alu instid0(SALU_CYCLE_1)
	v_lshl_or_b32 v2, s4, 8, v0
	s_wait_kmcnt 0x0
	global_load_b64 v[4:5], v2, s[0:1] scale_offset
	s_wait_xcnt 0x0
	s_movk_i32 s0, 0x64
	s_branch .LBB4_2
.LBB4_1:                                ;   in Loop: Header=BB4_2 Depth=1
	s_or_b32 exec_lo, exec_lo, s1
	s_add_co_i32 s0, s0, -1
	s_wait_dscnt 0x0
	s_cmp_lg_u32 s0, 0
	s_barrier_signal -1
	s_barrier_wait -1
	s_cbranch_scc0 .LBB4_4
.LBB4_2:                                ; =>This Inner Loop Header: Depth=1
	s_wait_loadcnt 0x0
	ds_store_b64 v1, v[4:5]
	s_wait_dscnt 0x0
	s_barrier_signal -1
	s_barrier_wait -1
	s_and_saveexec_b32 s1, vcc_lo
	s_cbranch_execz .LBB4_1
; %bb.3:                                ;   in Loop: Header=BB4_2 Depth=1
	ds_load_b64 v[4:5], v1 offset:8
	s_branch .LBB4_1
.LBB4_4:
	v_lshl_add_u64 v[0:1], v[2:3], 3, s[2:3]
	global_store_b64 v[0:1], v[4:5], off
	s_endpgm
	.section	.rodata,"a",@progbits
	.p2align	6, 0x0
	.amdhsa_kernel _Z6kernelI6offsetxLj256ELj1ELj100EEvPKT0_PS1_
		.amdhsa_group_segment_fixed_size 2048
		.amdhsa_private_segment_fixed_size 0
		.amdhsa_kernarg_size 16
		.amdhsa_user_sgpr_count 2
		.amdhsa_user_sgpr_dispatch_ptr 0
		.amdhsa_user_sgpr_queue_ptr 0
		.amdhsa_user_sgpr_kernarg_segment_ptr 1
		.amdhsa_user_sgpr_dispatch_id 0
		.amdhsa_user_sgpr_kernarg_preload_length 0
		.amdhsa_user_sgpr_kernarg_preload_offset 0
		.amdhsa_user_sgpr_private_segment_size 0
		.amdhsa_wavefront_size32 1
		.amdhsa_uses_dynamic_stack 0
		.amdhsa_enable_private_segment 0
		.amdhsa_system_sgpr_workgroup_id_x 1
		.amdhsa_system_sgpr_workgroup_id_y 0
		.amdhsa_system_sgpr_workgroup_id_z 0
		.amdhsa_system_sgpr_workgroup_info 0
		.amdhsa_system_vgpr_workitem_id 0
		.amdhsa_next_free_vgpr 6
		.amdhsa_next_free_sgpr 7
		.amdhsa_named_barrier_count 0
		.amdhsa_reserve_vcc 1
		.amdhsa_float_round_mode_32 0
		.amdhsa_float_round_mode_16_64 0
		.amdhsa_float_denorm_mode_32 3
		.amdhsa_float_denorm_mode_16_64 3
		.amdhsa_fp16_overflow 0
		.amdhsa_memory_ordered 1
		.amdhsa_forward_progress 1
		.amdhsa_inst_pref_size 2
		.amdhsa_round_robin_scheduling 0
		.amdhsa_exception_fp_ieee_invalid_op 0
		.amdhsa_exception_fp_denorm_src 0
		.amdhsa_exception_fp_ieee_div_zero 0
		.amdhsa_exception_fp_ieee_overflow 0
		.amdhsa_exception_fp_ieee_underflow 0
		.amdhsa_exception_fp_ieee_inexact 0
		.amdhsa_exception_int_div_zero 0
	.end_amdhsa_kernel
	.section	.text._Z6kernelI6offsetxLj256ELj1ELj100EEvPKT0_PS1_,"axG",@progbits,_Z6kernelI6offsetxLj256ELj1ELj100EEvPKT0_PS1_,comdat
.Lfunc_end4:
	.size	_Z6kernelI6offsetxLj256ELj1ELj100EEvPKT0_PS1_, .Lfunc_end4-_Z6kernelI6offsetxLj256ELj1ELj100EEvPKT0_PS1_
                                        ; -- End function
	.set _Z6kernelI6offsetxLj256ELj1ELj100EEvPKT0_PS1_.num_vgpr, 6
	.set _Z6kernelI6offsetxLj256ELj1ELj100EEvPKT0_PS1_.num_agpr, 0
	.set _Z6kernelI6offsetxLj256ELj1ELj100EEvPKT0_PS1_.numbered_sgpr, 7
	.set _Z6kernelI6offsetxLj256ELj1ELj100EEvPKT0_PS1_.num_named_barrier, 0
	.set _Z6kernelI6offsetxLj256ELj1ELj100EEvPKT0_PS1_.private_seg_size, 0
	.set _Z6kernelI6offsetxLj256ELj1ELj100EEvPKT0_PS1_.uses_vcc, 1
	.set _Z6kernelI6offsetxLj256ELj1ELj100EEvPKT0_PS1_.uses_flat_scratch, 0
	.set _Z6kernelI6offsetxLj256ELj1ELj100EEvPKT0_PS1_.has_dyn_sized_stack, 0
	.set _Z6kernelI6offsetxLj256ELj1ELj100EEvPKT0_PS1_.has_recursion, 0
	.set _Z6kernelI6offsetxLj256ELj1ELj100EEvPKT0_PS1_.has_indirect_call, 0
	.section	.AMDGPU.csdata,"",@progbits
; Kernel info:
; codeLenInByte = 200
; TotalNumSgprs: 9
; NumVgprs: 6
; ScratchSize: 0
; MemoryBound: 0
; FloatMode: 240
; IeeeMode: 1
; LDSByteSize: 2048 bytes/workgroup (compile time only)
; SGPRBlocks: 0
; VGPRBlocks: 0
; NumSGPRsForWavesPerEU: 9
; NumVGPRsForWavesPerEU: 6
; NamedBarCnt: 0
; Occupancy: 16
; WaveLimiterHint : 0
; COMPUTE_PGM_RSRC2:SCRATCH_EN: 0
; COMPUTE_PGM_RSRC2:USER_SGPR: 2
; COMPUTE_PGM_RSRC2:TRAP_HANDLER: 0
; COMPUTE_PGM_RSRC2:TGID_X_EN: 1
; COMPUTE_PGM_RSRC2:TGID_Y_EN: 0
; COMPUTE_PGM_RSRC2:TGID_Z_EN: 0
; COMPUTE_PGM_RSRC2:TIDIG_COMP_CNT: 0
	.section	.text._Z6kernelI6offsetN15benchmark_utils11custom_typeIffEELj256ELj1ELj100EEvPKT0_PS4_,"axG",@progbits,_Z6kernelI6offsetN15benchmark_utils11custom_typeIffEELj256ELj1ELj100EEvPKT0_PS4_,comdat
	.protected	_Z6kernelI6offsetN15benchmark_utils11custom_typeIffEELj256ELj1ELj100EEvPKT0_PS4_ ; -- Begin function _Z6kernelI6offsetN15benchmark_utils11custom_typeIffEELj256ELj1ELj100EEvPKT0_PS4_
	.globl	_Z6kernelI6offsetN15benchmark_utils11custom_typeIffEELj256ELj1ELj100EEvPKT0_PS4_
	.p2align	8
	.type	_Z6kernelI6offsetN15benchmark_utils11custom_typeIffEELj256ELj1ELj100EEvPKT0_PS4_,@function
_Z6kernelI6offsetN15benchmark_utils11custom_typeIffEELj256ELj1ELj100EEvPKT0_PS4_: ; @_Z6kernelI6offsetN15benchmark_utils11custom_typeIffEELj256ELj1ELj100EEvPKT0_PS4_
; %bb.0:
	s_load_b128 s[0:3], s[0:1], 0x0
	s_bfe_u32 s4, ttmp6, 0x4000c
	s_and_b32 s5, ttmp6, 15
	s_add_co_i32 s4, s4, 1
	s_getreg_b32 s6, hwreg(HW_REG_IB_STS2, 6, 4)
	s_mul_i32 s4, ttmp9, s4
	v_dual_mov_b32 v3, 0 :: v_dual_lshlrev_b32 v1, 3, v0
	s_add_co_i32 s5, s5, s4
	s_cmp_eq_u32 s6, 0
	v_cmp_gt_u32_e32 vcc_lo, 0xff, v0
	s_cselect_b32 s4, ttmp9, s5
	s_delay_alu instid0(SALU_CYCLE_1)
	v_lshl_or_b32 v2, s4, 8, v0
	s_wait_kmcnt 0x0
	global_load_b64 v[4:5], v2, s[0:1] scale_offset
	s_wait_xcnt 0x0
	s_movk_i32 s0, 0x64
	s_branch .LBB5_2
.LBB5_1:                                ;   in Loop: Header=BB5_2 Depth=1
	s_or_b32 exec_lo, exec_lo, s1
	s_add_co_i32 s0, s0, -1
	s_wait_dscnt 0x0
	s_cmp_lg_u32 s0, 0
	s_barrier_signal -1
	s_barrier_wait -1
	s_cbranch_scc0 .LBB5_4
.LBB5_2:                                ; =>This Inner Loop Header: Depth=1
	s_wait_loadcnt 0x0
	ds_store_2addr_b32 v1, v4, v5 offset1:1
	s_wait_dscnt 0x0
	s_barrier_signal -1
	s_barrier_wait -1
	s_and_saveexec_b32 s1, vcc_lo
	s_cbranch_execz .LBB5_1
; %bb.3:                                ;   in Loop: Header=BB5_2 Depth=1
	ds_load_2addr_b32 v[4:5], v1 offset0:2 offset1:3
	s_branch .LBB5_1
.LBB5_4:
	v_lshl_add_u64 v[0:1], v[2:3], 3, s[2:3]
	global_store_b64 v[0:1], v[4:5], off
	s_endpgm
	.section	.rodata,"a",@progbits
	.p2align	6, 0x0
	.amdhsa_kernel _Z6kernelI6offsetN15benchmark_utils11custom_typeIffEELj256ELj1ELj100EEvPKT0_PS4_
		.amdhsa_group_segment_fixed_size 2048
		.amdhsa_private_segment_fixed_size 0
		.amdhsa_kernarg_size 16
		.amdhsa_user_sgpr_count 2
		.amdhsa_user_sgpr_dispatch_ptr 0
		.amdhsa_user_sgpr_queue_ptr 0
		.amdhsa_user_sgpr_kernarg_segment_ptr 1
		.amdhsa_user_sgpr_dispatch_id 0
		.amdhsa_user_sgpr_kernarg_preload_length 0
		.amdhsa_user_sgpr_kernarg_preload_offset 0
		.amdhsa_user_sgpr_private_segment_size 0
		.amdhsa_wavefront_size32 1
		.amdhsa_uses_dynamic_stack 0
		.amdhsa_enable_private_segment 0
		.amdhsa_system_sgpr_workgroup_id_x 1
		.amdhsa_system_sgpr_workgroup_id_y 0
		.amdhsa_system_sgpr_workgroup_id_z 0
		.amdhsa_system_sgpr_workgroup_info 0
		.amdhsa_system_vgpr_workitem_id 0
		.amdhsa_next_free_vgpr 6
		.amdhsa_next_free_sgpr 7
		.amdhsa_named_barrier_count 0
		.amdhsa_reserve_vcc 1
		.amdhsa_float_round_mode_32 0
		.amdhsa_float_round_mode_16_64 0
		.amdhsa_float_denorm_mode_32 3
		.amdhsa_float_denorm_mode_16_64 3
		.amdhsa_fp16_overflow 0
		.amdhsa_memory_ordered 1
		.amdhsa_forward_progress 1
		.amdhsa_inst_pref_size 2
		.amdhsa_round_robin_scheduling 0
		.amdhsa_exception_fp_ieee_invalid_op 0
		.amdhsa_exception_fp_denorm_src 0
		.amdhsa_exception_fp_ieee_div_zero 0
		.amdhsa_exception_fp_ieee_overflow 0
		.amdhsa_exception_fp_ieee_underflow 0
		.amdhsa_exception_fp_ieee_inexact 0
		.amdhsa_exception_int_div_zero 0
	.end_amdhsa_kernel
	.section	.text._Z6kernelI6offsetN15benchmark_utils11custom_typeIffEELj256ELj1ELj100EEvPKT0_PS4_,"axG",@progbits,_Z6kernelI6offsetN15benchmark_utils11custom_typeIffEELj256ELj1ELj100EEvPKT0_PS4_,comdat
.Lfunc_end5:
	.size	_Z6kernelI6offsetN15benchmark_utils11custom_typeIffEELj256ELj1ELj100EEvPKT0_PS4_, .Lfunc_end5-_Z6kernelI6offsetN15benchmark_utils11custom_typeIffEELj256ELj1ELj100EEvPKT0_PS4_
                                        ; -- End function
	.set _Z6kernelI6offsetN15benchmark_utils11custom_typeIffEELj256ELj1ELj100EEvPKT0_PS4_.num_vgpr, 6
	.set _Z6kernelI6offsetN15benchmark_utils11custom_typeIffEELj256ELj1ELj100EEvPKT0_PS4_.num_agpr, 0
	.set _Z6kernelI6offsetN15benchmark_utils11custom_typeIffEELj256ELj1ELj100EEvPKT0_PS4_.numbered_sgpr, 7
	.set _Z6kernelI6offsetN15benchmark_utils11custom_typeIffEELj256ELj1ELj100EEvPKT0_PS4_.num_named_barrier, 0
	.set _Z6kernelI6offsetN15benchmark_utils11custom_typeIffEELj256ELj1ELj100EEvPKT0_PS4_.private_seg_size, 0
	.set _Z6kernelI6offsetN15benchmark_utils11custom_typeIffEELj256ELj1ELj100EEvPKT0_PS4_.uses_vcc, 1
	.set _Z6kernelI6offsetN15benchmark_utils11custom_typeIffEELj256ELj1ELj100EEvPKT0_PS4_.uses_flat_scratch, 0
	.set _Z6kernelI6offsetN15benchmark_utils11custom_typeIffEELj256ELj1ELj100EEvPKT0_PS4_.has_dyn_sized_stack, 0
	.set _Z6kernelI6offsetN15benchmark_utils11custom_typeIffEELj256ELj1ELj100EEvPKT0_PS4_.has_recursion, 0
	.set _Z6kernelI6offsetN15benchmark_utils11custom_typeIffEELj256ELj1ELj100EEvPKT0_PS4_.has_indirect_call, 0
	.section	.AMDGPU.csdata,"",@progbits
; Kernel info:
; codeLenInByte = 200
; TotalNumSgprs: 9
; NumVgprs: 6
; ScratchSize: 0
; MemoryBound: 0
; FloatMode: 240
; IeeeMode: 1
; LDSByteSize: 2048 bytes/workgroup (compile time only)
; SGPRBlocks: 0
; VGPRBlocks: 0
; NumSGPRsForWavesPerEU: 9
; NumVGPRsForWavesPerEU: 6
; NamedBarCnt: 0
; Occupancy: 16
; WaveLimiterHint : 0
; COMPUTE_PGM_RSRC2:SCRATCH_EN: 0
; COMPUTE_PGM_RSRC2:USER_SGPR: 2
; COMPUTE_PGM_RSRC2:TRAP_HANDLER: 0
; COMPUTE_PGM_RSRC2:TGID_X_EN: 1
; COMPUTE_PGM_RSRC2:TGID_Y_EN: 0
; COMPUTE_PGM_RSRC2:TGID_Z_EN: 0
; COMPUTE_PGM_RSRC2:TIDIG_COMP_CNT: 0
	.section	.text._Z6kernelI6offsetN15benchmark_utils11custom_typeIddEELj256ELj1ELj100EEvPKT0_PS4_,"axG",@progbits,_Z6kernelI6offsetN15benchmark_utils11custom_typeIddEELj256ELj1ELj100EEvPKT0_PS4_,comdat
	.protected	_Z6kernelI6offsetN15benchmark_utils11custom_typeIddEELj256ELj1ELj100EEvPKT0_PS4_ ; -- Begin function _Z6kernelI6offsetN15benchmark_utils11custom_typeIddEELj256ELj1ELj100EEvPKT0_PS4_
	.globl	_Z6kernelI6offsetN15benchmark_utils11custom_typeIddEELj256ELj1ELj100EEvPKT0_PS4_
	.p2align	8
	.type	_Z6kernelI6offsetN15benchmark_utils11custom_typeIddEELj256ELj1ELj100EEvPKT0_PS4_,@function
_Z6kernelI6offsetN15benchmark_utils11custom_typeIddEELj256ELj1ELj100EEvPKT0_PS4_: ; @_Z6kernelI6offsetN15benchmark_utils11custom_typeIddEELj256ELj1ELj100EEvPKT0_PS4_
; %bb.0:
	s_load_b128 s[0:3], s[0:1], 0x0
	s_bfe_u32 s4, ttmp6, 0x4000c
	s_and_b32 s5, ttmp6, 15
	s_add_co_i32 s4, s4, 1
	s_getreg_b32 s6, hwreg(HW_REG_IB_STS2, 6, 4)
	s_mul_i32 s4, ttmp9, s4
	v_dual_mov_b32 v7, 0 :: v_dual_lshlrev_b32 v1, 4, v0
	s_add_co_i32 s5, s5, s4
	s_cmp_eq_u32 s6, 0
	v_cmp_gt_u32_e32 vcc_lo, 0xff, v0
	s_cselect_b32 s4, ttmp9, s5
	s_delay_alu instid0(SALU_CYCLE_1)
	v_lshl_or_b32 v6, s4, 8, v0
	s_wait_kmcnt 0x0
	global_load_b128 v[2:5], v6, s[0:1] scale_offset
	s_wait_xcnt 0x0
	s_movk_i32 s0, 0x64
	s_branch .LBB6_2
.LBB6_1:                                ;   in Loop: Header=BB6_2 Depth=1
	s_or_b32 exec_lo, exec_lo, s1
	s_add_co_i32 s0, s0, -1
	s_wait_dscnt 0x0
	s_cmp_lg_u32 s0, 0
	s_barrier_signal -1
	s_barrier_wait -1
	s_cbranch_scc0 .LBB6_4
.LBB6_2:                                ; =>This Inner Loop Header: Depth=1
	s_wait_loadcnt 0x0
	ds_store_2addr_b64 v1, v[2:3], v[4:5] offset1:1
	s_wait_dscnt 0x0
	s_barrier_signal -1
	s_barrier_wait -1
	s_and_saveexec_b32 s1, vcc_lo
	s_cbranch_execz .LBB6_1
; %bb.3:                                ;   in Loop: Header=BB6_2 Depth=1
	ds_load_2addr_b64 v[2:5], v1 offset0:2 offset1:3
	s_branch .LBB6_1
.LBB6_4:
	v_lshl_add_u64 v[0:1], v[6:7], 4, s[2:3]
	global_store_b128 v[0:1], v[2:5], off
	s_endpgm
	.section	.rodata,"a",@progbits
	.p2align	6, 0x0
	.amdhsa_kernel _Z6kernelI6offsetN15benchmark_utils11custom_typeIddEELj256ELj1ELj100EEvPKT0_PS4_
		.amdhsa_group_segment_fixed_size 4096
		.amdhsa_private_segment_fixed_size 0
		.amdhsa_kernarg_size 16
		.amdhsa_user_sgpr_count 2
		.amdhsa_user_sgpr_dispatch_ptr 0
		.amdhsa_user_sgpr_queue_ptr 0
		.amdhsa_user_sgpr_kernarg_segment_ptr 1
		.amdhsa_user_sgpr_dispatch_id 0
		.amdhsa_user_sgpr_kernarg_preload_length 0
		.amdhsa_user_sgpr_kernarg_preload_offset 0
		.amdhsa_user_sgpr_private_segment_size 0
		.amdhsa_wavefront_size32 1
		.amdhsa_uses_dynamic_stack 0
		.amdhsa_enable_private_segment 0
		.amdhsa_system_sgpr_workgroup_id_x 1
		.amdhsa_system_sgpr_workgroup_id_y 0
		.amdhsa_system_sgpr_workgroup_id_z 0
		.amdhsa_system_sgpr_workgroup_info 0
		.amdhsa_system_vgpr_workitem_id 0
		.amdhsa_next_free_vgpr 8
		.amdhsa_next_free_sgpr 7
		.amdhsa_named_barrier_count 0
		.amdhsa_reserve_vcc 1
		.amdhsa_float_round_mode_32 0
		.amdhsa_float_round_mode_16_64 0
		.amdhsa_float_denorm_mode_32 3
		.amdhsa_float_denorm_mode_16_64 3
		.amdhsa_fp16_overflow 0
		.amdhsa_memory_ordered 1
		.amdhsa_forward_progress 1
		.amdhsa_inst_pref_size 2
		.amdhsa_round_robin_scheduling 0
		.amdhsa_exception_fp_ieee_invalid_op 0
		.amdhsa_exception_fp_denorm_src 0
		.amdhsa_exception_fp_ieee_div_zero 0
		.amdhsa_exception_fp_ieee_overflow 0
		.amdhsa_exception_fp_ieee_underflow 0
		.amdhsa_exception_fp_ieee_inexact 0
		.amdhsa_exception_int_div_zero 0
	.end_amdhsa_kernel
	.section	.text._Z6kernelI6offsetN15benchmark_utils11custom_typeIddEELj256ELj1ELj100EEvPKT0_PS4_,"axG",@progbits,_Z6kernelI6offsetN15benchmark_utils11custom_typeIddEELj256ELj1ELj100EEvPKT0_PS4_,comdat
.Lfunc_end6:
	.size	_Z6kernelI6offsetN15benchmark_utils11custom_typeIddEELj256ELj1ELj100EEvPKT0_PS4_, .Lfunc_end6-_Z6kernelI6offsetN15benchmark_utils11custom_typeIddEELj256ELj1ELj100EEvPKT0_PS4_
                                        ; -- End function
	.set _Z6kernelI6offsetN15benchmark_utils11custom_typeIddEELj256ELj1ELj100EEvPKT0_PS4_.num_vgpr, 8
	.set _Z6kernelI6offsetN15benchmark_utils11custom_typeIddEELj256ELj1ELj100EEvPKT0_PS4_.num_agpr, 0
	.set _Z6kernelI6offsetN15benchmark_utils11custom_typeIddEELj256ELj1ELj100EEvPKT0_PS4_.numbered_sgpr, 7
	.set _Z6kernelI6offsetN15benchmark_utils11custom_typeIddEELj256ELj1ELj100EEvPKT0_PS4_.num_named_barrier, 0
	.set _Z6kernelI6offsetN15benchmark_utils11custom_typeIddEELj256ELj1ELj100EEvPKT0_PS4_.private_seg_size, 0
	.set _Z6kernelI6offsetN15benchmark_utils11custom_typeIddEELj256ELj1ELj100EEvPKT0_PS4_.uses_vcc, 1
	.set _Z6kernelI6offsetN15benchmark_utils11custom_typeIddEELj256ELj1ELj100EEvPKT0_PS4_.uses_flat_scratch, 0
	.set _Z6kernelI6offsetN15benchmark_utils11custom_typeIddEELj256ELj1ELj100EEvPKT0_PS4_.has_dyn_sized_stack, 0
	.set _Z6kernelI6offsetN15benchmark_utils11custom_typeIddEELj256ELj1ELj100EEvPKT0_PS4_.has_recursion, 0
	.set _Z6kernelI6offsetN15benchmark_utils11custom_typeIddEELj256ELj1ELj100EEvPKT0_PS4_.has_indirect_call, 0
	.section	.AMDGPU.csdata,"",@progbits
; Kernel info:
; codeLenInByte = 200
; TotalNumSgprs: 9
; NumVgprs: 8
; ScratchSize: 0
; MemoryBound: 0
; FloatMode: 240
; IeeeMode: 1
; LDSByteSize: 4096 bytes/workgroup (compile time only)
; SGPRBlocks: 0
; VGPRBlocks: 0
; NumSGPRsForWavesPerEU: 9
; NumVGPRsForWavesPerEU: 8
; NamedBarCnt: 0
; Occupancy: 16
; WaveLimiterHint : 0
; COMPUTE_PGM_RSRC2:SCRATCH_EN: 0
; COMPUTE_PGM_RSRC2:USER_SGPR: 2
; COMPUTE_PGM_RSRC2:TRAP_HANDLER: 0
; COMPUTE_PGM_RSRC2:TGID_X_EN: 1
; COMPUTE_PGM_RSRC2:TGID_Y_EN: 0
; COMPUTE_PGM_RSRC2:TGID_Z_EN: 0
; COMPUTE_PGM_RSRC2:TIDIG_COMP_CNT: 0
	.section	.text._Z6kernelI6rotateiLj256ELj1ELj100EEvPKT0_PS1_,"axG",@progbits,_Z6kernelI6rotateiLj256ELj1ELj100EEvPKT0_PS1_,comdat
	.protected	_Z6kernelI6rotateiLj256ELj1ELj100EEvPKT0_PS1_ ; -- Begin function _Z6kernelI6rotateiLj256ELj1ELj100EEvPKT0_PS1_
	.globl	_Z6kernelI6rotateiLj256ELj1ELj100EEvPKT0_PS1_
	.p2align	8
	.type	_Z6kernelI6rotateiLj256ELj1ELj100EEvPKT0_PS1_,@function
_Z6kernelI6rotateiLj256ELj1ELj100EEvPKT0_PS1_: ; @_Z6kernelI6rotateiLj256ELj1ELj100EEvPKT0_PS1_
; %bb.0:
	s_load_b128 s[0:3], s[0:1], 0x0
	s_bfe_u32 s4, ttmp6, 0x4000c
	s_and_b32 s5, ttmp6, 15
	s_add_co_i32 s4, s4, 1
	s_getreg_b32 s6, hwreg(HW_REG_IB_STS2, 6, 4)
	s_mul_i32 s4, ttmp9, s4
	v_cmp_lt_u32_e32 vcc_lo, 0xfe, v0
	s_add_co_i32 s5, s5, s4
	s_cmp_eq_u32 s6, 0
	v_dual_mov_b32 v3, 0 :: v_dual_lshlrev_b32 v4, 2, v0
	s_cselect_b32 s4, ttmp9, s5
	v_cndmask_b32_e64 v5, 1, 0xffffff01, vcc_lo
	v_lshl_or_b32 v2, s4, 8, v0
	s_delay_alu instid0(VALU_DEP_2)
	v_add_lshl_u32 v0, v5, v0, 2
	s_wait_kmcnt 0x0
	global_load_b32 v1, v2, s[0:1] scale_offset
	s_wait_xcnt 0x0
	s_movk_i32 s0, 0x64
.LBB7_1:                                ; =>This Inner Loop Header: Depth=1
	s_wait_loadcnt 0x0
	ds_store_b32 v4, v1
	s_wait_dscnt 0x0
	s_barrier_signal -1
	s_barrier_wait -1
	ds_load_b32 v1, v0
	s_add_co_i32 s0, s0, -1
	s_wait_dscnt 0x0
	s_cmp_lg_u32 s0, 0
	s_barrier_signal -1
	s_barrier_wait -1
	s_cbranch_scc1 .LBB7_1
; %bb.2:
	v_lshl_add_u64 v[2:3], v[2:3], 2, s[2:3]
	global_store_b32 v[2:3], v1, off
	s_endpgm
	.section	.rodata,"a",@progbits
	.p2align	6, 0x0
	.amdhsa_kernel _Z6kernelI6rotateiLj256ELj1ELj100EEvPKT0_PS1_
		.amdhsa_group_segment_fixed_size 1024
		.amdhsa_private_segment_fixed_size 0
		.amdhsa_kernarg_size 16
		.amdhsa_user_sgpr_count 2
		.amdhsa_user_sgpr_dispatch_ptr 0
		.amdhsa_user_sgpr_queue_ptr 0
		.amdhsa_user_sgpr_kernarg_segment_ptr 1
		.amdhsa_user_sgpr_dispatch_id 0
		.amdhsa_user_sgpr_kernarg_preload_length 0
		.amdhsa_user_sgpr_kernarg_preload_offset 0
		.amdhsa_user_sgpr_private_segment_size 0
		.amdhsa_wavefront_size32 1
		.amdhsa_uses_dynamic_stack 0
		.amdhsa_enable_private_segment 0
		.amdhsa_system_sgpr_workgroup_id_x 1
		.amdhsa_system_sgpr_workgroup_id_y 0
		.amdhsa_system_sgpr_workgroup_id_z 0
		.amdhsa_system_sgpr_workgroup_info 0
		.amdhsa_system_vgpr_workitem_id 0
		.amdhsa_next_free_vgpr 6
		.amdhsa_next_free_sgpr 7
		.amdhsa_named_barrier_count 0
		.amdhsa_reserve_vcc 1
		.amdhsa_float_round_mode_32 0
		.amdhsa_float_round_mode_16_64 0
		.amdhsa_float_denorm_mode_32 3
		.amdhsa_float_denorm_mode_16_64 3
		.amdhsa_fp16_overflow 0
		.amdhsa_memory_ordered 1
		.amdhsa_forward_progress 1
		.amdhsa_inst_pref_size 2
		.amdhsa_round_robin_scheduling 0
		.amdhsa_exception_fp_ieee_invalid_op 0
		.amdhsa_exception_fp_denorm_src 0
		.amdhsa_exception_fp_ieee_div_zero 0
		.amdhsa_exception_fp_ieee_overflow 0
		.amdhsa_exception_fp_ieee_underflow 0
		.amdhsa_exception_fp_ieee_inexact 0
		.amdhsa_exception_int_div_zero 0
	.end_amdhsa_kernel
	.section	.text._Z6kernelI6rotateiLj256ELj1ELj100EEvPKT0_PS1_,"axG",@progbits,_Z6kernelI6rotateiLj256ELj1ELj100EEvPKT0_PS1_,comdat
.Lfunc_end7:
	.size	_Z6kernelI6rotateiLj256ELj1ELj100EEvPKT0_PS1_, .Lfunc_end7-_Z6kernelI6rotateiLj256ELj1ELj100EEvPKT0_PS1_
                                        ; -- End function
	.set _Z6kernelI6rotateiLj256ELj1ELj100EEvPKT0_PS1_.num_vgpr, 6
	.set _Z6kernelI6rotateiLj256ELj1ELj100EEvPKT0_PS1_.num_agpr, 0
	.set _Z6kernelI6rotateiLj256ELj1ELj100EEvPKT0_PS1_.numbered_sgpr, 7
	.set _Z6kernelI6rotateiLj256ELj1ELj100EEvPKT0_PS1_.num_named_barrier, 0
	.set _Z6kernelI6rotateiLj256ELj1ELj100EEvPKT0_PS1_.private_seg_size, 0
	.set _Z6kernelI6rotateiLj256ELj1ELj100EEvPKT0_PS1_.uses_vcc, 1
	.set _Z6kernelI6rotateiLj256ELj1ELj100EEvPKT0_PS1_.uses_flat_scratch, 0
	.set _Z6kernelI6rotateiLj256ELj1ELj100EEvPKT0_PS1_.has_dyn_sized_stack, 0
	.set _Z6kernelI6rotateiLj256ELj1ELj100EEvPKT0_PS1_.has_recursion, 0
	.set _Z6kernelI6rotateiLj256ELj1ELj100EEvPKT0_PS1_.has_indirect_call, 0
	.section	.AMDGPU.csdata,"",@progbits
; Kernel info:
; codeLenInByte = 196
; TotalNumSgprs: 9
; NumVgprs: 6
; ScratchSize: 0
; MemoryBound: 0
; FloatMode: 240
; IeeeMode: 1
; LDSByteSize: 1024 bytes/workgroup (compile time only)
; SGPRBlocks: 0
; VGPRBlocks: 0
; NumSGPRsForWavesPerEU: 9
; NumVGPRsForWavesPerEU: 6
; NamedBarCnt: 0
; Occupancy: 16
; WaveLimiterHint : 0
; COMPUTE_PGM_RSRC2:SCRATCH_EN: 0
; COMPUTE_PGM_RSRC2:USER_SGPR: 2
; COMPUTE_PGM_RSRC2:TRAP_HANDLER: 0
; COMPUTE_PGM_RSRC2:TGID_X_EN: 1
; COMPUTE_PGM_RSRC2:TGID_Y_EN: 0
; COMPUTE_PGM_RSRC2:TGID_Z_EN: 0
; COMPUTE_PGM_RSRC2:TIDIG_COMP_CNT: 0
	.section	.text._Z6kernelI6rotatefLj256ELj1ELj100EEvPKT0_PS1_,"axG",@progbits,_Z6kernelI6rotatefLj256ELj1ELj100EEvPKT0_PS1_,comdat
	.protected	_Z6kernelI6rotatefLj256ELj1ELj100EEvPKT0_PS1_ ; -- Begin function _Z6kernelI6rotatefLj256ELj1ELj100EEvPKT0_PS1_
	.globl	_Z6kernelI6rotatefLj256ELj1ELj100EEvPKT0_PS1_
	.p2align	8
	.type	_Z6kernelI6rotatefLj256ELj1ELj100EEvPKT0_PS1_,@function
_Z6kernelI6rotatefLj256ELj1ELj100EEvPKT0_PS1_: ; @_Z6kernelI6rotatefLj256ELj1ELj100EEvPKT0_PS1_
; %bb.0:
	s_load_b128 s[0:3], s[0:1], 0x0
	s_bfe_u32 s4, ttmp6, 0x4000c
	s_and_b32 s5, ttmp6, 15
	s_add_co_i32 s4, s4, 1
	s_getreg_b32 s6, hwreg(HW_REG_IB_STS2, 6, 4)
	s_mul_i32 s4, ttmp9, s4
	v_cmp_lt_u32_e32 vcc_lo, 0xfe, v0
	s_add_co_i32 s5, s5, s4
	s_cmp_eq_u32 s6, 0
	v_dual_mov_b32 v3, 0 :: v_dual_lshlrev_b32 v4, 2, v0
	s_cselect_b32 s4, ttmp9, s5
	v_cndmask_b32_e64 v5, 1, 0xffffff01, vcc_lo
	v_lshl_or_b32 v2, s4, 8, v0
	s_delay_alu instid0(VALU_DEP_2)
	v_add_lshl_u32 v0, v5, v0, 2
	s_wait_kmcnt 0x0
	global_load_b32 v1, v2, s[0:1] scale_offset
	s_wait_xcnt 0x0
	s_movk_i32 s0, 0x64
.LBB8_1:                                ; =>This Inner Loop Header: Depth=1
	s_wait_loadcnt 0x0
	ds_store_b32 v4, v1
	s_wait_dscnt 0x0
	s_barrier_signal -1
	s_barrier_wait -1
	ds_load_b32 v1, v0
	s_add_co_i32 s0, s0, -1
	s_wait_dscnt 0x0
	s_cmp_lg_u32 s0, 0
	s_barrier_signal -1
	s_barrier_wait -1
	s_cbranch_scc1 .LBB8_1
; %bb.2:
	v_lshl_add_u64 v[2:3], v[2:3], 2, s[2:3]
	global_store_b32 v[2:3], v1, off
	s_endpgm
	.section	.rodata,"a",@progbits
	.p2align	6, 0x0
	.amdhsa_kernel _Z6kernelI6rotatefLj256ELj1ELj100EEvPKT0_PS1_
		.amdhsa_group_segment_fixed_size 1024
		.amdhsa_private_segment_fixed_size 0
		.amdhsa_kernarg_size 16
		.amdhsa_user_sgpr_count 2
		.amdhsa_user_sgpr_dispatch_ptr 0
		.amdhsa_user_sgpr_queue_ptr 0
		.amdhsa_user_sgpr_kernarg_segment_ptr 1
		.amdhsa_user_sgpr_dispatch_id 0
		.amdhsa_user_sgpr_kernarg_preload_length 0
		.amdhsa_user_sgpr_kernarg_preload_offset 0
		.amdhsa_user_sgpr_private_segment_size 0
		.amdhsa_wavefront_size32 1
		.amdhsa_uses_dynamic_stack 0
		.amdhsa_enable_private_segment 0
		.amdhsa_system_sgpr_workgroup_id_x 1
		.amdhsa_system_sgpr_workgroup_id_y 0
		.amdhsa_system_sgpr_workgroup_id_z 0
		.amdhsa_system_sgpr_workgroup_info 0
		.amdhsa_system_vgpr_workitem_id 0
		.amdhsa_next_free_vgpr 6
		.amdhsa_next_free_sgpr 7
		.amdhsa_named_barrier_count 0
		.amdhsa_reserve_vcc 1
		.amdhsa_float_round_mode_32 0
		.amdhsa_float_round_mode_16_64 0
		.amdhsa_float_denorm_mode_32 3
		.amdhsa_float_denorm_mode_16_64 3
		.amdhsa_fp16_overflow 0
		.amdhsa_memory_ordered 1
		.amdhsa_forward_progress 1
		.amdhsa_inst_pref_size 2
		.amdhsa_round_robin_scheduling 0
		.amdhsa_exception_fp_ieee_invalid_op 0
		.amdhsa_exception_fp_denorm_src 0
		.amdhsa_exception_fp_ieee_div_zero 0
		.amdhsa_exception_fp_ieee_overflow 0
		.amdhsa_exception_fp_ieee_underflow 0
		.amdhsa_exception_fp_ieee_inexact 0
		.amdhsa_exception_int_div_zero 0
	.end_amdhsa_kernel
	.section	.text._Z6kernelI6rotatefLj256ELj1ELj100EEvPKT0_PS1_,"axG",@progbits,_Z6kernelI6rotatefLj256ELj1ELj100EEvPKT0_PS1_,comdat
.Lfunc_end8:
	.size	_Z6kernelI6rotatefLj256ELj1ELj100EEvPKT0_PS1_, .Lfunc_end8-_Z6kernelI6rotatefLj256ELj1ELj100EEvPKT0_PS1_
                                        ; -- End function
	.set _Z6kernelI6rotatefLj256ELj1ELj100EEvPKT0_PS1_.num_vgpr, 6
	.set _Z6kernelI6rotatefLj256ELj1ELj100EEvPKT0_PS1_.num_agpr, 0
	.set _Z6kernelI6rotatefLj256ELj1ELj100EEvPKT0_PS1_.numbered_sgpr, 7
	.set _Z6kernelI6rotatefLj256ELj1ELj100EEvPKT0_PS1_.num_named_barrier, 0
	.set _Z6kernelI6rotatefLj256ELj1ELj100EEvPKT0_PS1_.private_seg_size, 0
	.set _Z6kernelI6rotatefLj256ELj1ELj100EEvPKT0_PS1_.uses_vcc, 1
	.set _Z6kernelI6rotatefLj256ELj1ELj100EEvPKT0_PS1_.uses_flat_scratch, 0
	.set _Z6kernelI6rotatefLj256ELj1ELj100EEvPKT0_PS1_.has_dyn_sized_stack, 0
	.set _Z6kernelI6rotatefLj256ELj1ELj100EEvPKT0_PS1_.has_recursion, 0
	.set _Z6kernelI6rotatefLj256ELj1ELj100EEvPKT0_PS1_.has_indirect_call, 0
	.section	.AMDGPU.csdata,"",@progbits
; Kernel info:
; codeLenInByte = 196
; TotalNumSgprs: 9
; NumVgprs: 6
; ScratchSize: 0
; MemoryBound: 0
; FloatMode: 240
; IeeeMode: 1
; LDSByteSize: 1024 bytes/workgroup (compile time only)
; SGPRBlocks: 0
; VGPRBlocks: 0
; NumSGPRsForWavesPerEU: 9
; NumVGPRsForWavesPerEU: 6
; NamedBarCnt: 0
; Occupancy: 16
; WaveLimiterHint : 0
; COMPUTE_PGM_RSRC2:SCRATCH_EN: 0
; COMPUTE_PGM_RSRC2:USER_SGPR: 2
; COMPUTE_PGM_RSRC2:TRAP_HANDLER: 0
; COMPUTE_PGM_RSRC2:TGID_X_EN: 1
; COMPUTE_PGM_RSRC2:TGID_Y_EN: 0
; COMPUTE_PGM_RSRC2:TGID_Z_EN: 0
; COMPUTE_PGM_RSRC2:TIDIG_COMP_CNT: 0
	.section	.text._Z6kernelI6rotatedLj256ELj1ELj100EEvPKT0_PS1_,"axG",@progbits,_Z6kernelI6rotatedLj256ELj1ELj100EEvPKT0_PS1_,comdat
	.protected	_Z6kernelI6rotatedLj256ELj1ELj100EEvPKT0_PS1_ ; -- Begin function _Z6kernelI6rotatedLj256ELj1ELj100EEvPKT0_PS1_
	.globl	_Z6kernelI6rotatedLj256ELj1ELj100EEvPKT0_PS1_
	.p2align	8
	.type	_Z6kernelI6rotatedLj256ELj1ELj100EEvPKT0_PS1_,@function
_Z6kernelI6rotatedLj256ELj1ELj100EEvPKT0_PS1_: ; @_Z6kernelI6rotatedLj256ELj1ELj100EEvPKT0_PS1_
; %bb.0:
	s_load_b128 s[0:3], s[0:1], 0x0
	s_bfe_u32 s4, ttmp6, 0x4000c
	s_and_b32 s5, ttmp6, 15
	s_add_co_i32 s4, s4, 1
	s_getreg_b32 s6, hwreg(HW_REG_IB_STS2, 6, 4)
	s_mul_i32 s4, ttmp9, s4
	v_cmp_lt_u32_e32 vcc_lo, 0xfe, v0
	s_add_co_i32 s5, s5, s4
	s_cmp_eq_u32 s6, 0
	v_dual_mov_b32 v3, 0 :: v_dual_lshlrev_b32 v1, 3, v0
	s_cselect_b32 s4, ttmp9, s5
	v_cndmask_b32_e64 v6, 1, 0xffffff01, vcc_lo
	v_lshl_or_b32 v2, s4, 8, v0
	s_delay_alu instid0(VALU_DEP_2)
	v_add_lshl_u32 v0, v6, v0, 3
	s_wait_kmcnt 0x0
	global_load_b64 v[4:5], v2, s[0:1] scale_offset
	s_wait_xcnt 0x0
	s_movk_i32 s0, 0x64
.LBB9_1:                                ; =>This Inner Loop Header: Depth=1
	s_wait_loadcnt 0x0
	ds_store_b64 v1, v[4:5]
	s_wait_dscnt 0x0
	s_barrier_signal -1
	s_barrier_wait -1
	ds_load_b64 v[4:5], v0
	s_add_co_i32 s0, s0, -1
	s_wait_dscnt 0x0
	s_cmp_lg_u32 s0, 0
	s_barrier_signal -1
	s_barrier_wait -1
	s_cbranch_scc1 .LBB9_1
; %bb.2:
	v_lshl_add_u64 v[0:1], v[2:3], 3, s[2:3]
	global_store_b64 v[0:1], v[4:5], off
	s_endpgm
	.section	.rodata,"a",@progbits
	.p2align	6, 0x0
	.amdhsa_kernel _Z6kernelI6rotatedLj256ELj1ELj100EEvPKT0_PS1_
		.amdhsa_group_segment_fixed_size 2048
		.amdhsa_private_segment_fixed_size 0
		.amdhsa_kernarg_size 16
		.amdhsa_user_sgpr_count 2
		.amdhsa_user_sgpr_dispatch_ptr 0
		.amdhsa_user_sgpr_queue_ptr 0
		.amdhsa_user_sgpr_kernarg_segment_ptr 1
		.amdhsa_user_sgpr_dispatch_id 0
		.amdhsa_user_sgpr_kernarg_preload_length 0
		.amdhsa_user_sgpr_kernarg_preload_offset 0
		.amdhsa_user_sgpr_private_segment_size 0
		.amdhsa_wavefront_size32 1
		.amdhsa_uses_dynamic_stack 0
		.amdhsa_enable_private_segment 0
		.amdhsa_system_sgpr_workgroup_id_x 1
		.amdhsa_system_sgpr_workgroup_id_y 0
		.amdhsa_system_sgpr_workgroup_id_z 0
		.amdhsa_system_sgpr_workgroup_info 0
		.amdhsa_system_vgpr_workitem_id 0
		.amdhsa_next_free_vgpr 7
		.amdhsa_next_free_sgpr 7
		.amdhsa_named_barrier_count 0
		.amdhsa_reserve_vcc 1
		.amdhsa_float_round_mode_32 0
		.amdhsa_float_round_mode_16_64 0
		.amdhsa_float_denorm_mode_32 3
		.amdhsa_float_denorm_mode_16_64 3
		.amdhsa_fp16_overflow 0
		.amdhsa_memory_ordered 1
		.amdhsa_forward_progress 1
		.amdhsa_inst_pref_size 2
		.amdhsa_round_robin_scheduling 0
		.amdhsa_exception_fp_ieee_invalid_op 0
		.amdhsa_exception_fp_denorm_src 0
		.amdhsa_exception_fp_ieee_div_zero 0
		.amdhsa_exception_fp_ieee_overflow 0
		.amdhsa_exception_fp_ieee_underflow 0
		.amdhsa_exception_fp_ieee_inexact 0
		.amdhsa_exception_int_div_zero 0
	.end_amdhsa_kernel
	.section	.text._Z6kernelI6rotatedLj256ELj1ELj100EEvPKT0_PS1_,"axG",@progbits,_Z6kernelI6rotatedLj256ELj1ELj100EEvPKT0_PS1_,comdat
.Lfunc_end9:
	.size	_Z6kernelI6rotatedLj256ELj1ELj100EEvPKT0_PS1_, .Lfunc_end9-_Z6kernelI6rotatedLj256ELj1ELj100EEvPKT0_PS1_
                                        ; -- End function
	.set _Z6kernelI6rotatedLj256ELj1ELj100EEvPKT0_PS1_.num_vgpr, 7
	.set _Z6kernelI6rotatedLj256ELj1ELj100EEvPKT0_PS1_.num_agpr, 0
	.set _Z6kernelI6rotatedLj256ELj1ELj100EEvPKT0_PS1_.numbered_sgpr, 7
	.set _Z6kernelI6rotatedLj256ELj1ELj100EEvPKT0_PS1_.num_named_barrier, 0
	.set _Z6kernelI6rotatedLj256ELj1ELj100EEvPKT0_PS1_.private_seg_size, 0
	.set _Z6kernelI6rotatedLj256ELj1ELj100EEvPKT0_PS1_.uses_vcc, 1
	.set _Z6kernelI6rotatedLj256ELj1ELj100EEvPKT0_PS1_.uses_flat_scratch, 0
	.set _Z6kernelI6rotatedLj256ELj1ELj100EEvPKT0_PS1_.has_dyn_sized_stack, 0
	.set _Z6kernelI6rotatedLj256ELj1ELj100EEvPKT0_PS1_.has_recursion, 0
	.set _Z6kernelI6rotatedLj256ELj1ELj100EEvPKT0_PS1_.has_indirect_call, 0
	.section	.AMDGPU.csdata,"",@progbits
; Kernel info:
; codeLenInByte = 200
; TotalNumSgprs: 9
; NumVgprs: 7
; ScratchSize: 0
; MemoryBound: 0
; FloatMode: 240
; IeeeMode: 1
; LDSByteSize: 2048 bytes/workgroup (compile time only)
; SGPRBlocks: 0
; VGPRBlocks: 0
; NumSGPRsForWavesPerEU: 9
; NumVGPRsForWavesPerEU: 7
; NamedBarCnt: 0
; Occupancy: 16
; WaveLimiterHint : 0
; COMPUTE_PGM_RSRC2:SCRATCH_EN: 0
; COMPUTE_PGM_RSRC2:USER_SGPR: 2
; COMPUTE_PGM_RSRC2:TRAP_HANDLER: 0
; COMPUTE_PGM_RSRC2:TGID_X_EN: 1
; COMPUTE_PGM_RSRC2:TGID_Y_EN: 0
; COMPUTE_PGM_RSRC2:TGID_Z_EN: 0
; COMPUTE_PGM_RSRC2:TIDIG_COMP_CNT: 0
	.section	.text._Z6kernelI6rotateaLj256ELj1ELj100EEvPKT0_PS1_,"axG",@progbits,_Z6kernelI6rotateaLj256ELj1ELj100EEvPKT0_PS1_,comdat
	.protected	_Z6kernelI6rotateaLj256ELj1ELj100EEvPKT0_PS1_ ; -- Begin function _Z6kernelI6rotateaLj256ELj1ELj100EEvPKT0_PS1_
	.globl	_Z6kernelI6rotateaLj256ELj1ELj100EEvPKT0_PS1_
	.p2align	8
	.type	_Z6kernelI6rotateaLj256ELj1ELj100EEvPKT0_PS1_,@function
_Z6kernelI6rotateaLj256ELj1ELj100EEvPKT0_PS1_: ; @_Z6kernelI6rotateaLj256ELj1ELj100EEvPKT0_PS1_
; %bb.0:
	s_load_b128 s[0:3], s[0:1], 0x0
	s_bfe_u32 s4, ttmp6, 0x4000c
	s_and_b32 s5, ttmp6, 15
	s_add_co_i32 s4, s4, 1
	s_getreg_b32 s6, hwreg(HW_REG_IB_STS2, 6, 4)
	s_mul_i32 s4, ttmp9, s4
	v_cmp_lt_u32_e32 vcc_lo, 0xfe, v0
	s_add_co_i32 s5, s5, s4
	s_cmp_eq_u32 s6, 0
	s_cselect_b32 s4, ttmp9, s5
	v_cndmask_b32_e64 v4, 1, 0xffffff01, vcc_lo
	v_lshl_or_b32 v2, s4, 8, v0
	s_delay_alu instid0(VALU_DEP_2)
	v_dual_mov_b32 v3, 0 :: v_dual_add_nc_u32 v4, v4, v0
	s_wait_kmcnt 0x0
	global_load_u8 v1, v2, s[0:1]
	s_wait_xcnt 0x0
	s_movk_i32 s0, 0x64
.LBB10_1:                               ; =>This Inner Loop Header: Depth=1
	s_wait_loadcnt 0x0
	ds_store_b8 v0, v1
	s_wait_dscnt 0x0
	s_barrier_signal -1
	s_barrier_wait -1
	ds_load_u8 v1, v4
	s_add_co_i32 s0, s0, -1
	s_wait_dscnt 0x0
	s_cmp_lg_u32 s0, 0
	s_barrier_signal -1
	s_barrier_wait -1
	s_cbranch_scc1 .LBB10_1
; %bb.2:
	v_add_nc_u64_e32 v[2:3], s[2:3], v[2:3]
	global_store_b8 v[2:3], v1, off
	s_endpgm
	.section	.rodata,"a",@progbits
	.p2align	6, 0x0
	.amdhsa_kernel _Z6kernelI6rotateaLj256ELj1ELj100EEvPKT0_PS1_
		.amdhsa_group_segment_fixed_size 256
		.amdhsa_private_segment_fixed_size 0
		.amdhsa_kernarg_size 16
		.amdhsa_user_sgpr_count 2
		.amdhsa_user_sgpr_dispatch_ptr 0
		.amdhsa_user_sgpr_queue_ptr 0
		.amdhsa_user_sgpr_kernarg_segment_ptr 1
		.amdhsa_user_sgpr_dispatch_id 0
		.amdhsa_user_sgpr_kernarg_preload_length 0
		.amdhsa_user_sgpr_kernarg_preload_offset 0
		.amdhsa_user_sgpr_private_segment_size 0
		.amdhsa_wavefront_size32 1
		.amdhsa_uses_dynamic_stack 0
		.amdhsa_enable_private_segment 0
		.amdhsa_system_sgpr_workgroup_id_x 1
		.amdhsa_system_sgpr_workgroup_id_y 0
		.amdhsa_system_sgpr_workgroup_id_z 0
		.amdhsa_system_sgpr_workgroup_info 0
		.amdhsa_system_vgpr_workitem_id 0
		.amdhsa_next_free_vgpr 5
		.amdhsa_next_free_sgpr 7
		.amdhsa_named_barrier_count 0
		.amdhsa_reserve_vcc 1
		.amdhsa_float_round_mode_32 0
		.amdhsa_float_round_mode_16_64 0
		.amdhsa_float_denorm_mode_32 3
		.amdhsa_float_denorm_mode_16_64 3
		.amdhsa_fp16_overflow 0
		.amdhsa_memory_ordered 1
		.amdhsa_forward_progress 1
		.amdhsa_inst_pref_size 2
		.amdhsa_round_robin_scheduling 0
		.amdhsa_exception_fp_ieee_invalid_op 0
		.amdhsa_exception_fp_denorm_src 0
		.amdhsa_exception_fp_ieee_div_zero 0
		.amdhsa_exception_fp_ieee_overflow 0
		.amdhsa_exception_fp_ieee_underflow 0
		.amdhsa_exception_fp_ieee_inexact 0
		.amdhsa_exception_int_div_zero 0
	.end_amdhsa_kernel
	.section	.text._Z6kernelI6rotateaLj256ELj1ELj100EEvPKT0_PS1_,"axG",@progbits,_Z6kernelI6rotateaLj256ELj1ELj100EEvPKT0_PS1_,comdat
.Lfunc_end10:
	.size	_Z6kernelI6rotateaLj256ELj1ELj100EEvPKT0_PS1_, .Lfunc_end10-_Z6kernelI6rotateaLj256ELj1ELj100EEvPKT0_PS1_
                                        ; -- End function
	.set _Z6kernelI6rotateaLj256ELj1ELj100EEvPKT0_PS1_.num_vgpr, 5
	.set _Z6kernelI6rotateaLj256ELj1ELj100EEvPKT0_PS1_.num_agpr, 0
	.set _Z6kernelI6rotateaLj256ELj1ELj100EEvPKT0_PS1_.numbered_sgpr, 7
	.set _Z6kernelI6rotateaLj256ELj1ELj100EEvPKT0_PS1_.num_named_barrier, 0
	.set _Z6kernelI6rotateaLj256ELj1ELj100EEvPKT0_PS1_.private_seg_size, 0
	.set _Z6kernelI6rotateaLj256ELj1ELj100EEvPKT0_PS1_.uses_vcc, 1
	.set _Z6kernelI6rotateaLj256ELj1ELj100EEvPKT0_PS1_.uses_flat_scratch, 0
	.set _Z6kernelI6rotateaLj256ELj1ELj100EEvPKT0_PS1_.has_dyn_sized_stack, 0
	.set _Z6kernelI6rotateaLj256ELj1ELj100EEvPKT0_PS1_.has_recursion, 0
	.set _Z6kernelI6rotateaLj256ELj1ELj100EEvPKT0_PS1_.has_indirect_call, 0
	.section	.AMDGPU.csdata,"",@progbits
; Kernel info:
; codeLenInByte = 184
; TotalNumSgprs: 9
; NumVgprs: 5
; ScratchSize: 0
; MemoryBound: 0
; FloatMode: 240
; IeeeMode: 1
; LDSByteSize: 256 bytes/workgroup (compile time only)
; SGPRBlocks: 0
; VGPRBlocks: 0
; NumSGPRsForWavesPerEU: 9
; NumVGPRsForWavesPerEU: 5
; NamedBarCnt: 0
; Occupancy: 16
; WaveLimiterHint : 0
; COMPUTE_PGM_RSRC2:SCRATCH_EN: 0
; COMPUTE_PGM_RSRC2:USER_SGPR: 2
; COMPUTE_PGM_RSRC2:TRAP_HANDLER: 0
; COMPUTE_PGM_RSRC2:TGID_X_EN: 1
; COMPUTE_PGM_RSRC2:TGID_Y_EN: 0
; COMPUTE_PGM_RSRC2:TGID_Z_EN: 0
; COMPUTE_PGM_RSRC2:TIDIG_COMP_CNT: 0
	.section	.text._Z6kernelI6rotatexLj256ELj1ELj100EEvPKT0_PS1_,"axG",@progbits,_Z6kernelI6rotatexLj256ELj1ELj100EEvPKT0_PS1_,comdat
	.protected	_Z6kernelI6rotatexLj256ELj1ELj100EEvPKT0_PS1_ ; -- Begin function _Z6kernelI6rotatexLj256ELj1ELj100EEvPKT0_PS1_
	.globl	_Z6kernelI6rotatexLj256ELj1ELj100EEvPKT0_PS1_
	.p2align	8
	.type	_Z6kernelI6rotatexLj256ELj1ELj100EEvPKT0_PS1_,@function
_Z6kernelI6rotatexLj256ELj1ELj100EEvPKT0_PS1_: ; @_Z6kernelI6rotatexLj256ELj1ELj100EEvPKT0_PS1_
; %bb.0:
	s_load_b128 s[0:3], s[0:1], 0x0
	s_bfe_u32 s4, ttmp6, 0x4000c
	s_and_b32 s5, ttmp6, 15
	s_add_co_i32 s4, s4, 1
	s_getreg_b32 s6, hwreg(HW_REG_IB_STS2, 6, 4)
	s_mul_i32 s4, ttmp9, s4
	v_cmp_lt_u32_e32 vcc_lo, 0xfe, v0
	s_add_co_i32 s5, s5, s4
	s_cmp_eq_u32 s6, 0
	v_dual_mov_b32 v3, 0 :: v_dual_lshlrev_b32 v1, 3, v0
	s_cselect_b32 s4, ttmp9, s5
	v_cndmask_b32_e64 v6, 1, 0xffffff01, vcc_lo
	v_lshl_or_b32 v2, s4, 8, v0
	s_delay_alu instid0(VALU_DEP_2)
	v_add_lshl_u32 v0, v6, v0, 3
	s_wait_kmcnt 0x0
	global_load_b64 v[4:5], v2, s[0:1] scale_offset
	s_wait_xcnt 0x0
	s_movk_i32 s0, 0x64
.LBB11_1:                               ; =>This Inner Loop Header: Depth=1
	s_wait_loadcnt 0x0
	ds_store_b64 v1, v[4:5]
	s_wait_dscnt 0x0
	s_barrier_signal -1
	s_barrier_wait -1
	ds_load_b64 v[4:5], v0
	s_add_co_i32 s0, s0, -1
	s_wait_dscnt 0x0
	s_cmp_lg_u32 s0, 0
	s_barrier_signal -1
	s_barrier_wait -1
	s_cbranch_scc1 .LBB11_1
; %bb.2:
	v_lshl_add_u64 v[0:1], v[2:3], 3, s[2:3]
	global_store_b64 v[0:1], v[4:5], off
	s_endpgm
	.section	.rodata,"a",@progbits
	.p2align	6, 0x0
	.amdhsa_kernel _Z6kernelI6rotatexLj256ELj1ELj100EEvPKT0_PS1_
		.amdhsa_group_segment_fixed_size 2048
		.amdhsa_private_segment_fixed_size 0
		.amdhsa_kernarg_size 16
		.amdhsa_user_sgpr_count 2
		.amdhsa_user_sgpr_dispatch_ptr 0
		.amdhsa_user_sgpr_queue_ptr 0
		.amdhsa_user_sgpr_kernarg_segment_ptr 1
		.amdhsa_user_sgpr_dispatch_id 0
		.amdhsa_user_sgpr_kernarg_preload_length 0
		.amdhsa_user_sgpr_kernarg_preload_offset 0
		.amdhsa_user_sgpr_private_segment_size 0
		.amdhsa_wavefront_size32 1
		.amdhsa_uses_dynamic_stack 0
		.amdhsa_enable_private_segment 0
		.amdhsa_system_sgpr_workgroup_id_x 1
		.amdhsa_system_sgpr_workgroup_id_y 0
		.amdhsa_system_sgpr_workgroup_id_z 0
		.amdhsa_system_sgpr_workgroup_info 0
		.amdhsa_system_vgpr_workitem_id 0
		.amdhsa_next_free_vgpr 7
		.amdhsa_next_free_sgpr 7
		.amdhsa_named_barrier_count 0
		.amdhsa_reserve_vcc 1
		.amdhsa_float_round_mode_32 0
		.amdhsa_float_round_mode_16_64 0
		.amdhsa_float_denorm_mode_32 3
		.amdhsa_float_denorm_mode_16_64 3
		.amdhsa_fp16_overflow 0
		.amdhsa_memory_ordered 1
		.amdhsa_forward_progress 1
		.amdhsa_inst_pref_size 2
		.amdhsa_round_robin_scheduling 0
		.amdhsa_exception_fp_ieee_invalid_op 0
		.amdhsa_exception_fp_denorm_src 0
		.amdhsa_exception_fp_ieee_div_zero 0
		.amdhsa_exception_fp_ieee_overflow 0
		.amdhsa_exception_fp_ieee_underflow 0
		.amdhsa_exception_fp_ieee_inexact 0
		.amdhsa_exception_int_div_zero 0
	.end_amdhsa_kernel
	.section	.text._Z6kernelI6rotatexLj256ELj1ELj100EEvPKT0_PS1_,"axG",@progbits,_Z6kernelI6rotatexLj256ELj1ELj100EEvPKT0_PS1_,comdat
.Lfunc_end11:
	.size	_Z6kernelI6rotatexLj256ELj1ELj100EEvPKT0_PS1_, .Lfunc_end11-_Z6kernelI6rotatexLj256ELj1ELj100EEvPKT0_PS1_
                                        ; -- End function
	.set _Z6kernelI6rotatexLj256ELj1ELj100EEvPKT0_PS1_.num_vgpr, 7
	.set _Z6kernelI6rotatexLj256ELj1ELj100EEvPKT0_PS1_.num_agpr, 0
	.set _Z6kernelI6rotatexLj256ELj1ELj100EEvPKT0_PS1_.numbered_sgpr, 7
	.set _Z6kernelI6rotatexLj256ELj1ELj100EEvPKT0_PS1_.num_named_barrier, 0
	.set _Z6kernelI6rotatexLj256ELj1ELj100EEvPKT0_PS1_.private_seg_size, 0
	.set _Z6kernelI6rotatexLj256ELj1ELj100EEvPKT0_PS1_.uses_vcc, 1
	.set _Z6kernelI6rotatexLj256ELj1ELj100EEvPKT0_PS1_.uses_flat_scratch, 0
	.set _Z6kernelI6rotatexLj256ELj1ELj100EEvPKT0_PS1_.has_dyn_sized_stack, 0
	.set _Z6kernelI6rotatexLj256ELj1ELj100EEvPKT0_PS1_.has_recursion, 0
	.set _Z6kernelI6rotatexLj256ELj1ELj100EEvPKT0_PS1_.has_indirect_call, 0
	.section	.AMDGPU.csdata,"",@progbits
; Kernel info:
; codeLenInByte = 200
; TotalNumSgprs: 9
; NumVgprs: 7
; ScratchSize: 0
; MemoryBound: 0
; FloatMode: 240
; IeeeMode: 1
; LDSByteSize: 2048 bytes/workgroup (compile time only)
; SGPRBlocks: 0
; VGPRBlocks: 0
; NumSGPRsForWavesPerEU: 9
; NumVGPRsForWavesPerEU: 7
; NamedBarCnt: 0
; Occupancy: 16
; WaveLimiterHint : 0
; COMPUTE_PGM_RSRC2:SCRATCH_EN: 0
; COMPUTE_PGM_RSRC2:USER_SGPR: 2
; COMPUTE_PGM_RSRC2:TRAP_HANDLER: 0
; COMPUTE_PGM_RSRC2:TGID_X_EN: 1
; COMPUTE_PGM_RSRC2:TGID_Y_EN: 0
; COMPUTE_PGM_RSRC2:TGID_Z_EN: 0
; COMPUTE_PGM_RSRC2:TIDIG_COMP_CNT: 0
	.section	.text._Z6kernelI6rotateN15benchmark_utils11custom_typeIffEELj256ELj1ELj100EEvPKT0_PS4_,"axG",@progbits,_Z6kernelI6rotateN15benchmark_utils11custom_typeIffEELj256ELj1ELj100EEvPKT0_PS4_,comdat
	.protected	_Z6kernelI6rotateN15benchmark_utils11custom_typeIffEELj256ELj1ELj100EEvPKT0_PS4_ ; -- Begin function _Z6kernelI6rotateN15benchmark_utils11custom_typeIffEELj256ELj1ELj100EEvPKT0_PS4_
	.globl	_Z6kernelI6rotateN15benchmark_utils11custom_typeIffEELj256ELj1ELj100EEvPKT0_PS4_
	.p2align	8
	.type	_Z6kernelI6rotateN15benchmark_utils11custom_typeIffEELj256ELj1ELj100EEvPKT0_PS4_,@function
_Z6kernelI6rotateN15benchmark_utils11custom_typeIffEELj256ELj1ELj100EEvPKT0_PS4_: ; @_Z6kernelI6rotateN15benchmark_utils11custom_typeIffEELj256ELj1ELj100EEvPKT0_PS4_
; %bb.0:
	s_load_b128 s[0:3], s[0:1], 0x0
	s_bfe_u32 s4, ttmp6, 0x4000c
	s_and_b32 s5, ttmp6, 15
	s_add_co_i32 s4, s4, 1
	s_getreg_b32 s6, hwreg(HW_REG_IB_STS2, 6, 4)
	s_mul_i32 s4, ttmp9, s4
	v_cmp_lt_u32_e32 vcc_lo, 0xfe, v0
	s_add_co_i32 s5, s5, s4
	s_cmp_eq_u32 s6, 0
	v_dual_mov_b32 v3, 0 :: v_dual_lshlrev_b32 v1, 3, v0
	s_cselect_b32 s4, ttmp9, s5
	v_cndmask_b32_e64 v6, 1, 0xffffff01, vcc_lo
	v_lshl_or_b32 v2, s4, 8, v0
	s_delay_alu instid0(VALU_DEP_2)
	v_add_lshl_u32 v0, v6, v0, 3
	s_wait_kmcnt 0x0
	global_load_b64 v[4:5], v2, s[0:1] scale_offset
	s_wait_xcnt 0x0
	s_movk_i32 s0, 0x64
.LBB12_1:                               ; =>This Inner Loop Header: Depth=1
	s_wait_loadcnt 0x0
	ds_store_2addr_b32 v1, v4, v5 offset1:1
	s_wait_dscnt 0x0
	s_barrier_signal -1
	s_barrier_wait -1
	ds_load_2addr_b32 v[4:5], v0 offset1:1
	s_add_co_i32 s0, s0, -1
	s_wait_dscnt 0x0
	s_cmp_lg_u32 s0, 0
	s_barrier_signal -1
	s_barrier_wait -1
	s_cbranch_scc1 .LBB12_1
; %bb.2:
	v_lshl_add_u64 v[0:1], v[2:3], 3, s[2:3]
	global_store_b64 v[0:1], v[4:5], off
	s_endpgm
	.section	.rodata,"a",@progbits
	.p2align	6, 0x0
	.amdhsa_kernel _Z6kernelI6rotateN15benchmark_utils11custom_typeIffEELj256ELj1ELj100EEvPKT0_PS4_
		.amdhsa_group_segment_fixed_size 2048
		.amdhsa_private_segment_fixed_size 0
		.amdhsa_kernarg_size 16
		.amdhsa_user_sgpr_count 2
		.amdhsa_user_sgpr_dispatch_ptr 0
		.amdhsa_user_sgpr_queue_ptr 0
		.amdhsa_user_sgpr_kernarg_segment_ptr 1
		.amdhsa_user_sgpr_dispatch_id 0
		.amdhsa_user_sgpr_kernarg_preload_length 0
		.amdhsa_user_sgpr_kernarg_preload_offset 0
		.amdhsa_user_sgpr_private_segment_size 0
		.amdhsa_wavefront_size32 1
		.amdhsa_uses_dynamic_stack 0
		.amdhsa_enable_private_segment 0
		.amdhsa_system_sgpr_workgroup_id_x 1
		.amdhsa_system_sgpr_workgroup_id_y 0
		.amdhsa_system_sgpr_workgroup_id_z 0
		.amdhsa_system_sgpr_workgroup_info 0
		.amdhsa_system_vgpr_workitem_id 0
		.amdhsa_next_free_vgpr 7
		.amdhsa_next_free_sgpr 7
		.amdhsa_named_barrier_count 0
		.amdhsa_reserve_vcc 1
		.amdhsa_float_round_mode_32 0
		.amdhsa_float_round_mode_16_64 0
		.amdhsa_float_denorm_mode_32 3
		.amdhsa_float_denorm_mode_16_64 3
		.amdhsa_fp16_overflow 0
		.amdhsa_memory_ordered 1
		.amdhsa_forward_progress 1
		.amdhsa_inst_pref_size 2
		.amdhsa_round_robin_scheduling 0
		.amdhsa_exception_fp_ieee_invalid_op 0
		.amdhsa_exception_fp_denorm_src 0
		.amdhsa_exception_fp_ieee_div_zero 0
		.amdhsa_exception_fp_ieee_overflow 0
		.amdhsa_exception_fp_ieee_underflow 0
		.amdhsa_exception_fp_ieee_inexact 0
		.amdhsa_exception_int_div_zero 0
	.end_amdhsa_kernel
	.section	.text._Z6kernelI6rotateN15benchmark_utils11custom_typeIffEELj256ELj1ELj100EEvPKT0_PS4_,"axG",@progbits,_Z6kernelI6rotateN15benchmark_utils11custom_typeIffEELj256ELj1ELj100EEvPKT0_PS4_,comdat
.Lfunc_end12:
	.size	_Z6kernelI6rotateN15benchmark_utils11custom_typeIffEELj256ELj1ELj100EEvPKT0_PS4_, .Lfunc_end12-_Z6kernelI6rotateN15benchmark_utils11custom_typeIffEELj256ELj1ELj100EEvPKT0_PS4_
                                        ; -- End function
	.set _Z6kernelI6rotateN15benchmark_utils11custom_typeIffEELj256ELj1ELj100EEvPKT0_PS4_.num_vgpr, 7
	.set _Z6kernelI6rotateN15benchmark_utils11custom_typeIffEELj256ELj1ELj100EEvPKT0_PS4_.num_agpr, 0
	.set _Z6kernelI6rotateN15benchmark_utils11custom_typeIffEELj256ELj1ELj100EEvPKT0_PS4_.numbered_sgpr, 7
	.set _Z6kernelI6rotateN15benchmark_utils11custom_typeIffEELj256ELj1ELj100EEvPKT0_PS4_.num_named_barrier, 0
	.set _Z6kernelI6rotateN15benchmark_utils11custom_typeIffEELj256ELj1ELj100EEvPKT0_PS4_.private_seg_size, 0
	.set _Z6kernelI6rotateN15benchmark_utils11custom_typeIffEELj256ELj1ELj100EEvPKT0_PS4_.uses_vcc, 1
	.set _Z6kernelI6rotateN15benchmark_utils11custom_typeIffEELj256ELj1ELj100EEvPKT0_PS4_.uses_flat_scratch, 0
	.set _Z6kernelI6rotateN15benchmark_utils11custom_typeIffEELj256ELj1ELj100EEvPKT0_PS4_.has_dyn_sized_stack, 0
	.set _Z6kernelI6rotateN15benchmark_utils11custom_typeIffEELj256ELj1ELj100EEvPKT0_PS4_.has_recursion, 0
	.set _Z6kernelI6rotateN15benchmark_utils11custom_typeIffEELj256ELj1ELj100EEvPKT0_PS4_.has_indirect_call, 0
	.section	.AMDGPU.csdata,"",@progbits
; Kernel info:
; codeLenInByte = 200
; TotalNumSgprs: 9
; NumVgprs: 7
; ScratchSize: 0
; MemoryBound: 0
; FloatMode: 240
; IeeeMode: 1
; LDSByteSize: 2048 bytes/workgroup (compile time only)
; SGPRBlocks: 0
; VGPRBlocks: 0
; NumSGPRsForWavesPerEU: 9
; NumVGPRsForWavesPerEU: 7
; NamedBarCnt: 0
; Occupancy: 16
; WaveLimiterHint : 0
; COMPUTE_PGM_RSRC2:SCRATCH_EN: 0
; COMPUTE_PGM_RSRC2:USER_SGPR: 2
; COMPUTE_PGM_RSRC2:TRAP_HANDLER: 0
; COMPUTE_PGM_RSRC2:TGID_X_EN: 1
; COMPUTE_PGM_RSRC2:TGID_Y_EN: 0
; COMPUTE_PGM_RSRC2:TGID_Z_EN: 0
; COMPUTE_PGM_RSRC2:TIDIG_COMP_CNT: 0
	.section	.text._Z6kernelI6rotateN15benchmark_utils11custom_typeIddEELj256ELj1ELj100EEvPKT0_PS4_,"axG",@progbits,_Z6kernelI6rotateN15benchmark_utils11custom_typeIddEELj256ELj1ELj100EEvPKT0_PS4_,comdat
	.protected	_Z6kernelI6rotateN15benchmark_utils11custom_typeIddEELj256ELj1ELj100EEvPKT0_PS4_ ; -- Begin function _Z6kernelI6rotateN15benchmark_utils11custom_typeIddEELj256ELj1ELj100EEvPKT0_PS4_
	.globl	_Z6kernelI6rotateN15benchmark_utils11custom_typeIddEELj256ELj1ELj100EEvPKT0_PS4_
	.p2align	8
	.type	_Z6kernelI6rotateN15benchmark_utils11custom_typeIddEELj256ELj1ELj100EEvPKT0_PS4_,@function
_Z6kernelI6rotateN15benchmark_utils11custom_typeIddEELj256ELj1ELj100EEvPKT0_PS4_: ; @_Z6kernelI6rotateN15benchmark_utils11custom_typeIddEELj256ELj1ELj100EEvPKT0_PS4_
; %bb.0:
	s_load_b128 s[0:3], s[0:1], 0x0
	s_bfe_u32 s4, ttmp6, 0x4000c
	s_and_b32 s5, ttmp6, 15
	s_add_co_i32 s4, s4, 1
	s_getreg_b32 s6, hwreg(HW_REG_IB_STS2, 6, 4)
	s_mul_i32 s4, ttmp9, s4
	v_cmp_lt_u32_e32 vcc_lo, 0xfe, v0
	s_add_co_i32 s5, s5, s4
	s_cmp_eq_u32 s6, 0
	v_dual_mov_b32 v7, 0 :: v_dual_lshlrev_b32 v1, 4, v0
	s_cselect_b32 s4, ttmp9, s5
	v_cndmask_b32_e64 v8, 1, 0xffffff01, vcc_lo
	v_lshl_or_b32 v6, s4, 8, v0
	s_delay_alu instid0(VALU_DEP_2)
	v_add_lshl_u32 v0, v8, v0, 4
	s_wait_kmcnt 0x0
	global_load_b128 v[2:5], v6, s[0:1] scale_offset
	s_wait_xcnt 0x0
	s_movk_i32 s0, 0x64
.LBB13_1:                               ; =>This Inner Loop Header: Depth=1
	s_wait_loadcnt 0x0
	ds_store_2addr_b64 v1, v[2:3], v[4:5] offset1:1
	s_wait_dscnt 0x0
	s_barrier_signal -1
	s_barrier_wait -1
	ds_load_2addr_b64 v[2:5], v0 offset1:1
	s_add_co_i32 s0, s0, -1
	s_wait_dscnt 0x0
	s_cmp_lg_u32 s0, 0
	s_barrier_signal -1
	s_barrier_wait -1
	s_cbranch_scc1 .LBB13_1
; %bb.2:
	v_lshl_add_u64 v[0:1], v[6:7], 4, s[2:3]
	global_store_b128 v[0:1], v[2:5], off
	s_endpgm
	.section	.rodata,"a",@progbits
	.p2align	6, 0x0
	.amdhsa_kernel _Z6kernelI6rotateN15benchmark_utils11custom_typeIddEELj256ELj1ELj100EEvPKT0_PS4_
		.amdhsa_group_segment_fixed_size 4096
		.amdhsa_private_segment_fixed_size 0
		.amdhsa_kernarg_size 16
		.amdhsa_user_sgpr_count 2
		.amdhsa_user_sgpr_dispatch_ptr 0
		.amdhsa_user_sgpr_queue_ptr 0
		.amdhsa_user_sgpr_kernarg_segment_ptr 1
		.amdhsa_user_sgpr_dispatch_id 0
		.amdhsa_user_sgpr_kernarg_preload_length 0
		.amdhsa_user_sgpr_kernarg_preload_offset 0
		.amdhsa_user_sgpr_private_segment_size 0
		.amdhsa_wavefront_size32 1
		.amdhsa_uses_dynamic_stack 0
		.amdhsa_enable_private_segment 0
		.amdhsa_system_sgpr_workgroup_id_x 1
		.amdhsa_system_sgpr_workgroup_id_y 0
		.amdhsa_system_sgpr_workgroup_id_z 0
		.amdhsa_system_sgpr_workgroup_info 0
		.amdhsa_system_vgpr_workitem_id 0
		.amdhsa_next_free_vgpr 9
		.amdhsa_next_free_sgpr 7
		.amdhsa_named_barrier_count 0
		.amdhsa_reserve_vcc 1
		.amdhsa_float_round_mode_32 0
		.amdhsa_float_round_mode_16_64 0
		.amdhsa_float_denorm_mode_32 3
		.amdhsa_float_denorm_mode_16_64 3
		.amdhsa_fp16_overflow 0
		.amdhsa_memory_ordered 1
		.amdhsa_forward_progress 1
		.amdhsa_inst_pref_size 2
		.amdhsa_round_robin_scheduling 0
		.amdhsa_exception_fp_ieee_invalid_op 0
		.amdhsa_exception_fp_denorm_src 0
		.amdhsa_exception_fp_ieee_div_zero 0
		.amdhsa_exception_fp_ieee_overflow 0
		.amdhsa_exception_fp_ieee_underflow 0
		.amdhsa_exception_fp_ieee_inexact 0
		.amdhsa_exception_int_div_zero 0
	.end_amdhsa_kernel
	.section	.text._Z6kernelI6rotateN15benchmark_utils11custom_typeIddEELj256ELj1ELj100EEvPKT0_PS4_,"axG",@progbits,_Z6kernelI6rotateN15benchmark_utils11custom_typeIddEELj256ELj1ELj100EEvPKT0_PS4_,comdat
.Lfunc_end13:
	.size	_Z6kernelI6rotateN15benchmark_utils11custom_typeIddEELj256ELj1ELj100EEvPKT0_PS4_, .Lfunc_end13-_Z6kernelI6rotateN15benchmark_utils11custom_typeIddEELj256ELj1ELj100EEvPKT0_PS4_
                                        ; -- End function
	.set _Z6kernelI6rotateN15benchmark_utils11custom_typeIddEELj256ELj1ELj100EEvPKT0_PS4_.num_vgpr, 9
	.set _Z6kernelI6rotateN15benchmark_utils11custom_typeIddEELj256ELj1ELj100EEvPKT0_PS4_.num_agpr, 0
	.set _Z6kernelI6rotateN15benchmark_utils11custom_typeIddEELj256ELj1ELj100EEvPKT0_PS4_.numbered_sgpr, 7
	.set _Z6kernelI6rotateN15benchmark_utils11custom_typeIddEELj256ELj1ELj100EEvPKT0_PS4_.num_named_barrier, 0
	.set _Z6kernelI6rotateN15benchmark_utils11custom_typeIddEELj256ELj1ELj100EEvPKT0_PS4_.private_seg_size, 0
	.set _Z6kernelI6rotateN15benchmark_utils11custom_typeIddEELj256ELj1ELj100EEvPKT0_PS4_.uses_vcc, 1
	.set _Z6kernelI6rotateN15benchmark_utils11custom_typeIddEELj256ELj1ELj100EEvPKT0_PS4_.uses_flat_scratch, 0
	.set _Z6kernelI6rotateN15benchmark_utils11custom_typeIddEELj256ELj1ELj100EEvPKT0_PS4_.has_dyn_sized_stack, 0
	.set _Z6kernelI6rotateN15benchmark_utils11custom_typeIddEELj256ELj1ELj100EEvPKT0_PS4_.has_recursion, 0
	.set _Z6kernelI6rotateN15benchmark_utils11custom_typeIddEELj256ELj1ELj100EEvPKT0_PS4_.has_indirect_call, 0
	.section	.AMDGPU.csdata,"",@progbits
; Kernel info:
; codeLenInByte = 200
; TotalNumSgprs: 9
; NumVgprs: 9
; ScratchSize: 0
; MemoryBound: 0
; FloatMode: 240
; IeeeMode: 1
; LDSByteSize: 4096 bytes/workgroup (compile time only)
; SGPRBlocks: 0
; VGPRBlocks: 0
; NumSGPRsForWavesPerEU: 9
; NumVGPRsForWavesPerEU: 9
; NamedBarCnt: 0
; Occupancy: 16
; WaveLimiterHint : 0
; COMPUTE_PGM_RSRC2:SCRATCH_EN: 0
; COMPUTE_PGM_RSRC2:USER_SGPR: 2
; COMPUTE_PGM_RSRC2:TRAP_HANDLER: 0
; COMPUTE_PGM_RSRC2:TGID_X_EN: 1
; COMPUTE_PGM_RSRC2:TGID_Y_EN: 0
; COMPUTE_PGM_RSRC2:TGID_Z_EN: 0
; COMPUTE_PGM_RSRC2:TIDIG_COMP_CNT: 0
	.section	.text._Z6kernelI2upiLj256ELj1ELj100EEvPKT0_PS1_,"axG",@progbits,_Z6kernelI2upiLj256ELj1ELj100EEvPKT0_PS1_,comdat
	.protected	_Z6kernelI2upiLj256ELj1ELj100EEvPKT0_PS1_ ; -- Begin function _Z6kernelI2upiLj256ELj1ELj100EEvPKT0_PS1_
	.globl	_Z6kernelI2upiLj256ELj1ELj100EEvPKT0_PS1_
	.p2align	8
	.type	_Z6kernelI2upiLj256ELj1ELj100EEvPKT0_PS1_,@function
_Z6kernelI2upiLj256ELj1ELj100EEvPKT0_PS1_: ; @_Z6kernelI2upiLj256ELj1ELj100EEvPKT0_PS1_
; %bb.0:
	s_load_b128 s[0:3], s[0:1], 0x0
	s_bfe_u32 s4, ttmp6, 0x4000c
	s_and_b32 s5, ttmp6, 15
	s_add_co_i32 s4, s4, 1
	s_getreg_b32 s6, hwreg(HW_REG_IB_STS2, 6, 4)
	s_mul_i32 s4, ttmp9, s4
	v_dual_mov_b32 v3, 0 :: v_dual_lshlrev_b32 v4, 2, v0
	s_add_co_i32 s5, s5, s4
	s_cmp_eq_u32 s6, 0
	v_cmp_ne_u32_e32 vcc_lo, 0, v0
	s_cselect_b32 s4, ttmp9, s5
	s_delay_alu instid0(SALU_CYCLE_1)
	v_lshl_or_b32 v2, s4, 8, v0
	v_add_nc_u32_e32 v0, -4, v4
	s_wait_kmcnt 0x0
	global_load_b32 v1, v2, s[0:1] scale_offset
	s_wait_xcnt 0x0
	s_movk_i32 s0, 0x64
	s_branch .LBB14_2
.LBB14_1:                               ;   in Loop: Header=BB14_2 Depth=1
	s_or_b32 exec_lo, exec_lo, s1
	s_add_co_i32 s0, s0, -1
	s_wait_dscnt 0x0
	s_cmp_lg_u32 s0, 0
	s_barrier_signal -1
	s_barrier_wait -1
	s_cbranch_scc0 .LBB14_4
.LBB14_2:                               ; =>This Inner Loop Header: Depth=1
	s_wait_loadcnt 0x0
	ds_store_b32 v4, v1
	s_wait_dscnt 0x0
	s_barrier_signal -1
	s_barrier_wait -1
	s_and_saveexec_b32 s1, vcc_lo
	s_cbranch_execz .LBB14_1
; %bb.3:                                ;   in Loop: Header=BB14_2 Depth=1
	ds_load_b32 v1, v0
	s_branch .LBB14_1
.LBB14_4:
	v_lshl_add_u64 v[2:3], v[2:3], 2, s[2:3]
	global_store_b32 v[2:3], v1, off
	s_endpgm
	.section	.rodata,"a",@progbits
	.p2align	6, 0x0
	.amdhsa_kernel _Z6kernelI2upiLj256ELj1ELj100EEvPKT0_PS1_
		.amdhsa_group_segment_fixed_size 1024
		.amdhsa_private_segment_fixed_size 0
		.amdhsa_kernarg_size 16
		.amdhsa_user_sgpr_count 2
		.amdhsa_user_sgpr_dispatch_ptr 0
		.amdhsa_user_sgpr_queue_ptr 0
		.amdhsa_user_sgpr_kernarg_segment_ptr 1
		.amdhsa_user_sgpr_dispatch_id 0
		.amdhsa_user_sgpr_kernarg_preload_length 0
		.amdhsa_user_sgpr_kernarg_preload_offset 0
		.amdhsa_user_sgpr_private_segment_size 0
		.amdhsa_wavefront_size32 1
		.amdhsa_uses_dynamic_stack 0
		.amdhsa_enable_private_segment 0
		.amdhsa_system_sgpr_workgroup_id_x 1
		.amdhsa_system_sgpr_workgroup_id_y 0
		.amdhsa_system_sgpr_workgroup_id_z 0
		.amdhsa_system_sgpr_workgroup_info 0
		.amdhsa_system_vgpr_workitem_id 0
		.amdhsa_next_free_vgpr 5
		.amdhsa_next_free_sgpr 7
		.amdhsa_named_barrier_count 0
		.amdhsa_reserve_vcc 1
		.amdhsa_float_round_mode_32 0
		.amdhsa_float_round_mode_16_64 0
		.amdhsa_float_denorm_mode_32 3
		.amdhsa_float_denorm_mode_16_64 3
		.amdhsa_fp16_overflow 0
		.amdhsa_memory_ordered 1
		.amdhsa_forward_progress 1
		.amdhsa_inst_pref_size 2
		.amdhsa_round_robin_scheduling 0
		.amdhsa_exception_fp_ieee_invalid_op 0
		.amdhsa_exception_fp_denorm_src 0
		.amdhsa_exception_fp_ieee_div_zero 0
		.amdhsa_exception_fp_ieee_overflow 0
		.amdhsa_exception_fp_ieee_underflow 0
		.amdhsa_exception_fp_ieee_inexact 0
		.amdhsa_exception_int_div_zero 0
	.end_amdhsa_kernel
	.section	.text._Z6kernelI2upiLj256ELj1ELj100EEvPKT0_PS1_,"axG",@progbits,_Z6kernelI2upiLj256ELj1ELj100EEvPKT0_PS1_,comdat
.Lfunc_end14:
	.size	_Z6kernelI2upiLj256ELj1ELj100EEvPKT0_PS1_, .Lfunc_end14-_Z6kernelI2upiLj256ELj1ELj100EEvPKT0_PS1_
                                        ; -- End function
	.set _Z6kernelI2upiLj256ELj1ELj100EEvPKT0_PS1_.num_vgpr, 5
	.set _Z6kernelI2upiLj256ELj1ELj100EEvPKT0_PS1_.num_agpr, 0
	.set _Z6kernelI2upiLj256ELj1ELj100EEvPKT0_PS1_.numbered_sgpr, 7
	.set _Z6kernelI2upiLj256ELj1ELj100EEvPKT0_PS1_.num_named_barrier, 0
	.set _Z6kernelI2upiLj256ELj1ELj100EEvPKT0_PS1_.private_seg_size, 0
	.set _Z6kernelI2upiLj256ELj1ELj100EEvPKT0_PS1_.uses_vcc, 1
	.set _Z6kernelI2upiLj256ELj1ELj100EEvPKT0_PS1_.uses_flat_scratch, 0
	.set _Z6kernelI2upiLj256ELj1ELj100EEvPKT0_PS1_.has_dyn_sized_stack, 0
	.set _Z6kernelI2upiLj256ELj1ELj100EEvPKT0_PS1_.has_recursion, 0
	.set _Z6kernelI2upiLj256ELj1ELj100EEvPKT0_PS1_.has_indirect_call, 0
	.section	.AMDGPU.csdata,"",@progbits
; Kernel info:
; codeLenInByte = 196
; TotalNumSgprs: 9
; NumVgprs: 5
; ScratchSize: 0
; MemoryBound: 0
; FloatMode: 240
; IeeeMode: 1
; LDSByteSize: 1024 bytes/workgroup (compile time only)
; SGPRBlocks: 0
; VGPRBlocks: 0
; NumSGPRsForWavesPerEU: 9
; NumVGPRsForWavesPerEU: 5
; NamedBarCnt: 0
; Occupancy: 16
; WaveLimiterHint : 0
; COMPUTE_PGM_RSRC2:SCRATCH_EN: 0
; COMPUTE_PGM_RSRC2:USER_SGPR: 2
; COMPUTE_PGM_RSRC2:TRAP_HANDLER: 0
; COMPUTE_PGM_RSRC2:TGID_X_EN: 1
; COMPUTE_PGM_RSRC2:TGID_Y_EN: 0
; COMPUTE_PGM_RSRC2:TGID_Z_EN: 0
; COMPUTE_PGM_RSRC2:TIDIG_COMP_CNT: 0
	.section	.text._Z6kernelI2upiLj256ELj3ELj100EEvPKT0_PS1_,"axG",@progbits,_Z6kernelI2upiLj256ELj3ELj100EEvPKT0_PS1_,comdat
	.protected	_Z6kernelI2upiLj256ELj3ELj100EEvPKT0_PS1_ ; -- Begin function _Z6kernelI2upiLj256ELj3ELj100EEvPKT0_PS1_
	.globl	_Z6kernelI2upiLj256ELj3ELj100EEvPKT0_PS1_
	.p2align	8
	.type	_Z6kernelI2upiLj256ELj3ELj100EEvPKT0_PS1_,@function
_Z6kernelI2upiLj256ELj3ELj100EEvPKT0_PS1_: ; @_Z6kernelI2upiLj256ELj3ELj100EEvPKT0_PS1_
; %bb.0:
	s_bfe_u32 s4, ttmp6, 0x4000c
	s_and_b32 s5, ttmp6, 15
	s_add_co_i32 s4, s4, 1
	s_load_b128 s[0:3], s[0:1], 0x0
	s_mul_i32 s4, ttmp9, s4
	s_getreg_b32 s6, hwreg(HW_REG_IB_STS2, 6, 4)
	s_add_co_i32 s5, s5, s4
	s_cmp_eq_u32 s6, 0
	v_dual_mov_b32 v3, 0 :: v_dual_lshlrev_b32 v9, 2, v0
	s_cselect_b32 s4, ttmp9, s5
	v_cmp_ne_u32_e32 vcc_lo, 0, v0
	v_lshl_or_b32 v1, s4, 8, v0
	s_delay_alu instid0(VALU_DEP_3) | instskip(SKIP_1) | instid1(VALU_DEP_3)
	v_dual_mov_b32 v5, v3 :: v_dual_mov_b32 v7, v3
	v_add_nc_u32_e32 v10, -4, v9
	v_lshl_add_u32 v2, v1, 1, v1
	s_delay_alu instid0(VALU_DEP_1)
	v_dual_add_nc_u32 v4, 1, v2 :: v_dual_add_nc_u32 v6, 2, v2
	s_wait_kmcnt 0x0
	s_clause 0x2
	global_load_b32 v8, v2, s[0:1] scale_offset
	global_load_b32 v1, v4, s[0:1] scale_offset
	;; [unrolled: 1-line block ×3, first 2 shown]
	s_wait_xcnt 0x0
	s_movk_i32 s0, 0x64
.LBB15_1:                               ; =>This Inner Loop Header: Depth=1
	s_wait_loadcnt 0x1
	v_dual_mov_b32 v0, v1 :: v_dual_mov_b32 v1, v8
	s_wait_loadcnt 0x0
	ds_store_b32 v9, v11
	s_wait_dscnt 0x0
	s_barrier_signal -1
	s_barrier_wait -1
	s_and_saveexec_b32 s1, vcc_lo
; %bb.2:                                ;   in Loop: Header=BB15_1 Depth=1
	ds_load_b32 v8, v10
; %bb.3:                                ;   in Loop: Header=BB15_1 Depth=1
	s_or_b32 exec_lo, exec_lo, s1
	s_add_co_i32 s0, s0, -1
	s_wait_dscnt 0x0
	s_cmp_lg_u32 s0, 0
	s_barrier_signal -1
	s_barrier_wait -1
	s_cbranch_scc0 .LBB15_5
; %bb.4:                                ;   in Loop: Header=BB15_1 Depth=1
	v_mov_b32_e32 v11, v0
	s_branch .LBB15_1
.LBB15_5:
	v_lshl_add_u64 v[2:3], v[2:3], 2, s[2:3]
	v_lshl_add_u64 v[4:5], v[4:5], 2, s[2:3]
	;; [unrolled: 1-line block ×3, first 2 shown]
	s_clause 0x2
	global_store_b32 v[2:3], v8, off
	global_store_b32 v[4:5], v1, off
	;; [unrolled: 1-line block ×3, first 2 shown]
	s_endpgm
	.section	.rodata,"a",@progbits
	.p2align	6, 0x0
	.amdhsa_kernel _Z6kernelI2upiLj256ELj3ELj100EEvPKT0_PS1_
		.amdhsa_group_segment_fixed_size 1024
		.amdhsa_private_segment_fixed_size 0
		.amdhsa_kernarg_size 16
		.amdhsa_user_sgpr_count 2
		.amdhsa_user_sgpr_dispatch_ptr 0
		.amdhsa_user_sgpr_queue_ptr 0
		.amdhsa_user_sgpr_kernarg_segment_ptr 1
		.amdhsa_user_sgpr_dispatch_id 0
		.amdhsa_user_sgpr_kernarg_preload_length 0
		.amdhsa_user_sgpr_kernarg_preload_offset 0
		.amdhsa_user_sgpr_private_segment_size 0
		.amdhsa_wavefront_size32 1
		.amdhsa_uses_dynamic_stack 0
		.amdhsa_enable_private_segment 0
		.amdhsa_system_sgpr_workgroup_id_x 1
		.amdhsa_system_sgpr_workgroup_id_y 0
		.amdhsa_system_sgpr_workgroup_id_z 0
		.amdhsa_system_sgpr_workgroup_info 0
		.amdhsa_system_vgpr_workitem_id 0
		.amdhsa_next_free_vgpr 12
		.amdhsa_next_free_sgpr 7
		.amdhsa_named_barrier_count 0
		.amdhsa_reserve_vcc 1
		.amdhsa_float_round_mode_32 0
		.amdhsa_float_round_mode_16_64 0
		.amdhsa_float_denorm_mode_32 3
		.amdhsa_float_denorm_mode_16_64 3
		.amdhsa_fp16_overflow 0
		.amdhsa_memory_ordered 1
		.amdhsa_forward_progress 1
		.amdhsa_inst_pref_size 3
		.amdhsa_round_robin_scheduling 0
		.amdhsa_exception_fp_ieee_invalid_op 0
		.amdhsa_exception_fp_denorm_src 0
		.amdhsa_exception_fp_ieee_div_zero 0
		.amdhsa_exception_fp_ieee_overflow 0
		.amdhsa_exception_fp_ieee_underflow 0
		.amdhsa_exception_fp_ieee_inexact 0
		.amdhsa_exception_int_div_zero 0
	.end_amdhsa_kernel
	.section	.text._Z6kernelI2upiLj256ELj3ELj100EEvPKT0_PS1_,"axG",@progbits,_Z6kernelI2upiLj256ELj3ELj100EEvPKT0_PS1_,comdat
.Lfunc_end15:
	.size	_Z6kernelI2upiLj256ELj3ELj100EEvPKT0_PS1_, .Lfunc_end15-_Z6kernelI2upiLj256ELj3ELj100EEvPKT0_PS1_
                                        ; -- End function
	.set _Z6kernelI2upiLj256ELj3ELj100EEvPKT0_PS1_.num_vgpr, 12
	.set _Z6kernelI2upiLj256ELj3ELj100EEvPKT0_PS1_.num_agpr, 0
	.set _Z6kernelI2upiLj256ELj3ELj100EEvPKT0_PS1_.numbered_sgpr, 7
	.set _Z6kernelI2upiLj256ELj3ELj100EEvPKT0_PS1_.num_named_barrier, 0
	.set _Z6kernelI2upiLj256ELj3ELj100EEvPKT0_PS1_.private_seg_size, 0
	.set _Z6kernelI2upiLj256ELj3ELj100EEvPKT0_PS1_.uses_vcc, 1
	.set _Z6kernelI2upiLj256ELj3ELj100EEvPKT0_PS1_.uses_flat_scratch, 0
	.set _Z6kernelI2upiLj256ELj3ELj100EEvPKT0_PS1_.has_dyn_sized_stack, 0
	.set _Z6kernelI2upiLj256ELj3ELj100EEvPKT0_PS1_.has_recursion, 0
	.set _Z6kernelI2upiLj256ELj3ELj100EEvPKT0_PS1_.has_indirect_call, 0
	.section	.AMDGPU.csdata,"",@progbits
; Kernel info:
; codeLenInByte = 316
; TotalNumSgprs: 9
; NumVgprs: 12
; ScratchSize: 0
; MemoryBound: 0
; FloatMode: 240
; IeeeMode: 1
; LDSByteSize: 1024 bytes/workgroup (compile time only)
; SGPRBlocks: 0
; VGPRBlocks: 0
; NumSGPRsForWavesPerEU: 9
; NumVGPRsForWavesPerEU: 12
; NamedBarCnt: 0
; Occupancy: 16
; WaveLimiterHint : 0
; COMPUTE_PGM_RSRC2:SCRATCH_EN: 0
; COMPUTE_PGM_RSRC2:USER_SGPR: 2
; COMPUTE_PGM_RSRC2:TRAP_HANDLER: 0
; COMPUTE_PGM_RSRC2:TGID_X_EN: 1
; COMPUTE_PGM_RSRC2:TGID_Y_EN: 0
; COMPUTE_PGM_RSRC2:TGID_Z_EN: 0
; COMPUTE_PGM_RSRC2:TIDIG_COMP_CNT: 0
	.section	.text._Z6kernelI2upiLj256ELj4ELj100EEvPKT0_PS1_,"axG",@progbits,_Z6kernelI2upiLj256ELj4ELj100EEvPKT0_PS1_,comdat
	.protected	_Z6kernelI2upiLj256ELj4ELj100EEvPKT0_PS1_ ; -- Begin function _Z6kernelI2upiLj256ELj4ELj100EEvPKT0_PS1_
	.globl	_Z6kernelI2upiLj256ELj4ELj100EEvPKT0_PS1_
	.p2align	8
	.type	_Z6kernelI2upiLj256ELj4ELj100EEvPKT0_PS1_,@function
_Z6kernelI2upiLj256ELj4ELj100EEvPKT0_PS1_: ; @_Z6kernelI2upiLj256ELj4ELj100EEvPKT0_PS1_
; %bb.0:
	s_load_b128 s[0:3], s[0:1], 0x0
	s_bfe_u32 s4, ttmp6, 0x4000c
	s_and_b32 s5, ttmp6, 15
	s_add_co_i32 s4, s4, 1
	s_getreg_b32 s6, hwreg(HW_REG_IB_STS2, 6, 4)
	s_mul_i32 s4, ttmp9, s4
	v_dual_lshlrev_b32 v1, 2, v0 :: v_dual_mov_b32 v11, 0
	s_add_co_i32 s5, s5, s4
	s_cmp_eq_u32 s6, 0
	v_cmp_ne_u32_e32 vcc_lo, 0, v0
	s_cselect_b32 s4, ttmp9, s5
	s_delay_alu instid0(SALU_CYCLE_1) | instskip(SKIP_1) | instid1(VALU_DEP_1)
	v_lshl_or_b32 v10, s4, 10, v1
	s_wait_kmcnt 0x0
	v_lshl_add_u64 v[2:3], v[10:11], 2, s[0:1]
	s_movk_i32 s0, 0x64
	global_load_b128 v[2:5], v[2:3], off
	s_wait_loadcnt 0x0
	v_dual_add_nc_u32 v12, -4, v1 :: v_dual_mov_b32 v0, v3
.LBB16_1:                               ; =>This Inner Loop Header: Depth=1
	s_delay_alu instid0(VALU_DEP_1)
	v_dual_mov_b32 v3, v4 :: v_dual_mov_b32 v4, v0
	v_mov_b32_e32 v0, v2
	ds_store_b32 v1, v5
	s_wait_dscnt 0x0
	v_mov_b64_e32 v[8:9], v[2:3]
	s_barrier_signal -1
	v_mov_b64_e32 v[6:7], v[0:1]
	s_barrier_wait -1
	s_and_saveexec_b32 s1, vcc_lo
	s_cbranch_execz .LBB16_3
; %bb.2:                                ;   in Loop: Header=BB16_1 Depth=1
	ds_load_b32 v6, v12
	s_wait_dscnt 0x0
	v_mov_b32_e32 v2, v6
.LBB16_3:                               ;   in Loop: Header=BB16_1 Depth=1
	s_or_b32 exec_lo, exec_lo, s1
	s_add_co_i32 s0, s0, -1
	s_delay_alu instid0(SALU_CYCLE_1)
	s_cmp_lg_u32 s0, 0
	s_barrier_signal -1
	s_barrier_wait -1
	s_cbranch_scc0 .LBB16_5
; %bb.4:                                ;   in Loop: Header=BB16_1 Depth=1
	v_mov_b32_e32 v5, v3
	s_branch .LBB16_1
.LBB16_5:
	v_dual_mov_b32 v7, v0 :: v_dual_mov_b32 v8, v4
	v_mov_b32_e32 v9, v3
	v_lshl_add_u64 v[0:1], v[10:11], 2, s[2:3]
	global_store_b128 v[0:1], v[6:9], off
	s_endpgm
	.section	.rodata,"a",@progbits
	.p2align	6, 0x0
	.amdhsa_kernel _Z6kernelI2upiLj256ELj4ELj100EEvPKT0_PS1_
		.amdhsa_group_segment_fixed_size 1024
		.amdhsa_private_segment_fixed_size 0
		.amdhsa_kernarg_size 16
		.amdhsa_user_sgpr_count 2
		.amdhsa_user_sgpr_dispatch_ptr 0
		.amdhsa_user_sgpr_queue_ptr 0
		.amdhsa_user_sgpr_kernarg_segment_ptr 1
		.amdhsa_user_sgpr_dispatch_id 0
		.amdhsa_user_sgpr_kernarg_preload_length 0
		.amdhsa_user_sgpr_kernarg_preload_offset 0
		.amdhsa_user_sgpr_private_segment_size 0
		.amdhsa_wavefront_size32 1
		.amdhsa_uses_dynamic_stack 0
		.amdhsa_enable_private_segment 0
		.amdhsa_system_sgpr_workgroup_id_x 1
		.amdhsa_system_sgpr_workgroup_id_y 0
		.amdhsa_system_sgpr_workgroup_id_z 0
		.amdhsa_system_sgpr_workgroup_info 0
		.amdhsa_system_vgpr_workitem_id 0
		.amdhsa_next_free_vgpr 13
		.amdhsa_next_free_sgpr 7
		.amdhsa_named_barrier_count 0
		.amdhsa_reserve_vcc 1
		.amdhsa_float_round_mode_32 0
		.amdhsa_float_round_mode_16_64 0
		.amdhsa_float_denorm_mode_32 3
		.amdhsa_float_denorm_mode_16_64 3
		.amdhsa_fp16_overflow 0
		.amdhsa_memory_ordered 1
		.amdhsa_forward_progress 1
		.amdhsa_inst_pref_size 2
		.amdhsa_round_robin_scheduling 0
		.amdhsa_exception_fp_ieee_invalid_op 0
		.amdhsa_exception_fp_denorm_src 0
		.amdhsa_exception_fp_ieee_div_zero 0
		.amdhsa_exception_fp_ieee_overflow 0
		.amdhsa_exception_fp_ieee_underflow 0
		.amdhsa_exception_fp_ieee_inexact 0
		.amdhsa_exception_int_div_zero 0
	.end_amdhsa_kernel
	.section	.text._Z6kernelI2upiLj256ELj4ELj100EEvPKT0_PS1_,"axG",@progbits,_Z6kernelI2upiLj256ELj4ELj100EEvPKT0_PS1_,comdat
.Lfunc_end16:
	.size	_Z6kernelI2upiLj256ELj4ELj100EEvPKT0_PS1_, .Lfunc_end16-_Z6kernelI2upiLj256ELj4ELj100EEvPKT0_PS1_
                                        ; -- End function
	.set _Z6kernelI2upiLj256ELj4ELj100EEvPKT0_PS1_.num_vgpr, 13
	.set _Z6kernelI2upiLj256ELj4ELj100EEvPKT0_PS1_.num_agpr, 0
	.set _Z6kernelI2upiLj256ELj4ELj100EEvPKT0_PS1_.numbered_sgpr, 7
	.set _Z6kernelI2upiLj256ELj4ELj100EEvPKT0_PS1_.num_named_barrier, 0
	.set _Z6kernelI2upiLj256ELj4ELj100EEvPKT0_PS1_.private_seg_size, 0
	.set _Z6kernelI2upiLj256ELj4ELj100EEvPKT0_PS1_.uses_vcc, 1
	.set _Z6kernelI2upiLj256ELj4ELj100EEvPKT0_PS1_.uses_flat_scratch, 0
	.set _Z6kernelI2upiLj256ELj4ELj100EEvPKT0_PS1_.has_dyn_sized_stack, 0
	.set _Z6kernelI2upiLj256ELj4ELj100EEvPKT0_PS1_.has_recursion, 0
	.set _Z6kernelI2upiLj256ELj4ELj100EEvPKT0_PS1_.has_indirect_call, 0
	.section	.AMDGPU.csdata,"",@progbits
; Kernel info:
; codeLenInByte = 256
; TotalNumSgprs: 9
; NumVgprs: 13
; ScratchSize: 0
; MemoryBound: 0
; FloatMode: 240
; IeeeMode: 1
; LDSByteSize: 1024 bytes/workgroup (compile time only)
; SGPRBlocks: 0
; VGPRBlocks: 0
; NumSGPRsForWavesPerEU: 9
; NumVGPRsForWavesPerEU: 13
; NamedBarCnt: 0
; Occupancy: 16
; WaveLimiterHint : 0
; COMPUTE_PGM_RSRC2:SCRATCH_EN: 0
; COMPUTE_PGM_RSRC2:USER_SGPR: 2
; COMPUTE_PGM_RSRC2:TRAP_HANDLER: 0
; COMPUTE_PGM_RSRC2:TGID_X_EN: 1
; COMPUTE_PGM_RSRC2:TGID_Y_EN: 0
; COMPUTE_PGM_RSRC2:TGID_Z_EN: 0
; COMPUTE_PGM_RSRC2:TIDIG_COMP_CNT: 0
	.section	.text._Z6kernelI2upiLj256ELj8ELj100EEvPKT0_PS1_,"axG",@progbits,_Z6kernelI2upiLj256ELj8ELj100EEvPKT0_PS1_,comdat
	.protected	_Z6kernelI2upiLj256ELj8ELj100EEvPKT0_PS1_ ; -- Begin function _Z6kernelI2upiLj256ELj8ELj100EEvPKT0_PS1_
	.globl	_Z6kernelI2upiLj256ELj8ELj100EEvPKT0_PS1_
	.p2align	8
	.type	_Z6kernelI2upiLj256ELj8ELj100EEvPKT0_PS1_,@function
_Z6kernelI2upiLj256ELj8ELj100EEvPKT0_PS1_: ; @_Z6kernelI2upiLj256ELj8ELj100EEvPKT0_PS1_
; %bb.0:
	s_load_b128 s[0:3], s[0:1], 0x0
	s_bfe_u32 s4, ttmp6, 0x4000c
	s_and_b32 s5, ttmp6, 15
	s_add_co_i32 s4, s4, 1
	s_getreg_b32 s6, hwreg(HW_REG_IB_STS2, 6, 4)
	s_mul_i32 s4, ttmp9, s4
	v_dual_lshlrev_b32 v1, 3, v0 :: v_dual_mov_b32 v19, 0
	s_add_co_i32 s5, s5, s4
	s_cmp_eq_u32 s6, 0
	v_cmp_ne_u32_e32 vcc_lo, 0, v0
	s_cselect_b32 s4, ttmp9, s5
	s_delay_alu instid0(SALU_CYCLE_1) | instskip(SKIP_1) | instid1(VALU_DEP_1)
	v_lshl_or_b32 v18, s4, 11, v1
	s_wait_kmcnt 0x0
	v_lshl_add_u64 v[2:3], v[18:19], 2, s[0:1]
	s_movk_i32 s0, 0x64
	s_clause 0x1
	global_load_b128 v[14:17], v[2:3], off
	global_load_b128 v[10:13], v[2:3], off offset:16
	s_wait_loadcnt 0x1
	v_dual_mov_b32 v0, v15 :: v_dual_lshlrev_b32 v1, 2, v0
	s_delay_alu instid0(VALU_DEP_1)
	v_add_nc_u32_e32 v20, -4, v1
.LBB17_1:                               ; =>This Inner Loop Header: Depth=1
	s_wait_loadcnt 0x0
	v_dual_mov_b32 v15, v12 :: v_dual_mov_b32 v12, v11
	v_dual_mov_b32 v11, v10 :: v_dual_mov_b32 v10, v17
	v_dual_mov_b32 v17, v16 :: v_dual_mov_b32 v16, v0
	v_mov_b32_e32 v0, v14
	v_mov_b64_e32 v[8:9], v[6:7]
	v_mov_b64_e32 v[6:7], v[4:5]
	;; [unrolled: 1-line block ×3, first 2 shown]
	ds_store_b32 v1, v13
	v_mov_b64_e32 v[2:3], v[0:1]
	s_wait_dscnt 0x0
	s_barrier_signal -1
	s_barrier_wait -1
	s_and_saveexec_b32 s1, vcc_lo
	s_cbranch_execz .LBB17_3
; %bb.2:                                ;   in Loop: Header=BB17_1 Depth=1
	ds_load_b32 v2, v20
	s_wait_dscnt 0x0
	v_mov_b32_e32 v14, v2
.LBB17_3:                               ;   in Loop: Header=BB17_1 Depth=1
	s_or_b32 exec_lo, exec_lo, s1
	s_add_co_i32 s0, s0, -1
	s_delay_alu instid0(SALU_CYCLE_1)
	s_cmp_lg_u32 s0, 0
	s_barrier_signal -1
	s_barrier_wait -1
	s_cbranch_scc0 .LBB17_5
; %bb.4:                                ;   in Loop: Header=BB17_1 Depth=1
	v_mov_b32_e32 v13, v15
	s_branch .LBB17_1
.LBB17_5:
	v_lshl_add_u64 v[6:7], v[18:19], 2, s[2:3]
	v_dual_mov_b32 v3, v0 :: v_dual_mov_b32 v4, v16
	v_dual_mov_b32 v5, v17 :: v_dual_mov_b32 v13, v15
	s_clause 0x1
	global_store_b128 v[6:7], v[2:5], off
	global_store_b128 v[6:7], v[10:13], off offset:16
	s_endpgm
	.section	.rodata,"a",@progbits
	.p2align	6, 0x0
	.amdhsa_kernel _Z6kernelI2upiLj256ELj8ELj100EEvPKT0_PS1_
		.amdhsa_group_segment_fixed_size 1024
		.amdhsa_private_segment_fixed_size 0
		.amdhsa_kernarg_size 16
		.amdhsa_user_sgpr_count 2
		.amdhsa_user_sgpr_dispatch_ptr 0
		.amdhsa_user_sgpr_queue_ptr 0
		.amdhsa_user_sgpr_kernarg_segment_ptr 1
		.amdhsa_user_sgpr_dispatch_id 0
		.amdhsa_user_sgpr_kernarg_preload_length 0
		.amdhsa_user_sgpr_kernarg_preload_offset 0
		.amdhsa_user_sgpr_private_segment_size 0
		.amdhsa_wavefront_size32 1
		.amdhsa_uses_dynamic_stack 0
		.amdhsa_enable_private_segment 0
		.amdhsa_system_sgpr_workgroup_id_x 1
		.amdhsa_system_sgpr_workgroup_id_y 0
		.amdhsa_system_sgpr_workgroup_id_z 0
		.amdhsa_system_sgpr_workgroup_info 0
		.amdhsa_system_vgpr_workitem_id 0
		.amdhsa_next_free_vgpr 21
		.amdhsa_next_free_sgpr 7
		.amdhsa_named_barrier_count 0
		.amdhsa_reserve_vcc 1
		.amdhsa_float_round_mode_32 0
		.amdhsa_float_round_mode_16_64 0
		.amdhsa_float_denorm_mode_32 3
		.amdhsa_float_denorm_mode_16_64 3
		.amdhsa_fp16_overflow 0
		.amdhsa_memory_ordered 1
		.amdhsa_forward_progress 1
		.amdhsa_inst_pref_size 3
		.amdhsa_round_robin_scheduling 0
		.amdhsa_exception_fp_ieee_invalid_op 0
		.amdhsa_exception_fp_denorm_src 0
		.amdhsa_exception_fp_ieee_div_zero 0
		.amdhsa_exception_fp_ieee_overflow 0
		.amdhsa_exception_fp_ieee_underflow 0
		.amdhsa_exception_fp_ieee_inexact 0
		.amdhsa_exception_int_div_zero 0
	.end_amdhsa_kernel
	.section	.text._Z6kernelI2upiLj256ELj8ELj100EEvPKT0_PS1_,"axG",@progbits,_Z6kernelI2upiLj256ELj8ELj100EEvPKT0_PS1_,comdat
.Lfunc_end17:
	.size	_Z6kernelI2upiLj256ELj8ELj100EEvPKT0_PS1_, .Lfunc_end17-_Z6kernelI2upiLj256ELj8ELj100EEvPKT0_PS1_
                                        ; -- End function
	.set _Z6kernelI2upiLj256ELj8ELj100EEvPKT0_PS1_.num_vgpr, 21
	.set _Z6kernelI2upiLj256ELj8ELj100EEvPKT0_PS1_.num_agpr, 0
	.set _Z6kernelI2upiLj256ELj8ELj100EEvPKT0_PS1_.numbered_sgpr, 7
	.set _Z6kernelI2upiLj256ELj8ELj100EEvPKT0_PS1_.num_named_barrier, 0
	.set _Z6kernelI2upiLj256ELj8ELj100EEvPKT0_PS1_.private_seg_size, 0
	.set _Z6kernelI2upiLj256ELj8ELj100EEvPKT0_PS1_.uses_vcc, 1
	.set _Z6kernelI2upiLj256ELj8ELj100EEvPKT0_PS1_.uses_flat_scratch, 0
	.set _Z6kernelI2upiLj256ELj8ELj100EEvPKT0_PS1_.has_dyn_sized_stack, 0
	.set _Z6kernelI2upiLj256ELj8ELj100EEvPKT0_PS1_.has_recursion, 0
	.set _Z6kernelI2upiLj256ELj8ELj100EEvPKT0_PS1_.has_indirect_call, 0
	.section	.AMDGPU.csdata,"",@progbits
; Kernel info:
; codeLenInByte = 324
; TotalNumSgprs: 9
; NumVgprs: 21
; ScratchSize: 0
; MemoryBound: 0
; FloatMode: 240
; IeeeMode: 1
; LDSByteSize: 1024 bytes/workgroup (compile time only)
; SGPRBlocks: 0
; VGPRBlocks: 1
; NumSGPRsForWavesPerEU: 9
; NumVGPRsForWavesPerEU: 21
; NamedBarCnt: 0
; Occupancy: 16
; WaveLimiterHint : 0
; COMPUTE_PGM_RSRC2:SCRATCH_EN: 0
; COMPUTE_PGM_RSRC2:USER_SGPR: 2
; COMPUTE_PGM_RSRC2:TRAP_HANDLER: 0
; COMPUTE_PGM_RSRC2:TGID_X_EN: 1
; COMPUTE_PGM_RSRC2:TGID_Y_EN: 0
; COMPUTE_PGM_RSRC2:TGID_Z_EN: 0
; COMPUTE_PGM_RSRC2:TIDIG_COMP_CNT: 0
	.section	.text._Z6kernelI2upiLj256ELj16ELj100EEvPKT0_PS1_,"axG",@progbits,_Z6kernelI2upiLj256ELj16ELj100EEvPKT0_PS1_,comdat
	.protected	_Z6kernelI2upiLj256ELj16ELj100EEvPKT0_PS1_ ; -- Begin function _Z6kernelI2upiLj256ELj16ELj100EEvPKT0_PS1_
	.globl	_Z6kernelI2upiLj256ELj16ELj100EEvPKT0_PS1_
	.p2align	8
	.type	_Z6kernelI2upiLj256ELj16ELj100EEvPKT0_PS1_,@function
_Z6kernelI2upiLj256ELj16ELj100EEvPKT0_PS1_: ; @_Z6kernelI2upiLj256ELj16ELj100EEvPKT0_PS1_
; %bb.0:
	s_load_b128 s[0:3], s[0:1], 0x0
	s_bfe_u32 s4, ttmp6, 0x4000c
	s_and_b32 s5, ttmp6, 15
	s_add_co_i32 s4, s4, 1
	s_getreg_b32 s6, hwreg(HW_REG_IB_STS2, 6, 4)
	s_mul_i32 s4, ttmp9, s4
	v_dual_lshlrev_b32 v1, 4, v0 :: v_dual_mov_b32 v21, 0
	s_add_co_i32 s5, s5, s4
	s_cmp_eq_u32 s6, 0
	v_cmp_ne_u32_e32 vcc_lo, 0, v0
	s_cselect_b32 s4, ttmp9, s5
	s_delay_alu instid0(SALU_CYCLE_1) | instskip(SKIP_1) | instid1(VALU_DEP_1)
	v_lshl_or_b32 v20, s4, 12, v1
	s_wait_kmcnt 0x0
	v_lshl_add_u64 v[18:19], v[20:21], 2, s[0:1]
	s_movk_i32 s0, 0x64
	s_clause 0x3
	global_load_b128 v[6:9], v[18:19], off
	global_load_b128 v[2:5], v[18:19], off offset:48
	global_load_b128 v[10:13], v[18:19], off offset:32
	;; [unrolled: 1-line block ×3, first 2 shown]
	s_wait_loadcnt 0x3
	s_wait_xcnt 0x0
	v_dual_lshlrev_b32 v18, 2, v0 :: v_dual_mov_b32 v0, v7
	s_delay_alu instid0(VALU_DEP_1)
	v_add_nc_u32_e32 v32, -4, v18
.LBB18_1:                               ; =>This Inner Loop Header: Depth=1
	v_mov_b32_e32 v19, v6
	s_wait_loadcnt 0x2
	ds_store_b32 v18, v5
	s_wait_loadcnt_dscnt 0x0
	s_barrier_signal -1
	s_barrier_wait -1
	s_and_saveexec_b32 s1, vcc_lo
; %bb.2:                                ;   in Loop: Header=BB18_1 Depth=1
	ds_load_b32 v6, v32
; %bb.3:                                ;   in Loop: Header=BB18_1 Depth=1
	s_or_b32 exec_lo, exec_lo, s1
	s_add_co_i32 s0, s0, -1
	s_wait_dscnt 0x0
	s_cmp_lg_u32 s0, 0
	s_barrier_signal -1
	s_barrier_wait -1
	s_cbranch_scc0 .LBB18_5
; %bb.4:                                ;   in Loop: Header=BB18_1 Depth=1
	v_dual_mov_b32 v1, v8 :: v_dual_mov_b32 v22, v9
	v_dual_mov_b32 v23, v14 :: v_dual_mov_b32 v24, v15
	;; [unrolled: 1-line block ×6, first 2 shown]
	v_mov_b32_e32 v4, v3
	v_mov_b64_e32 v[8:9], v[0:1]
	v_mov_b64_e32 v[14:15], v[22:23]
	;; [unrolled: 1-line block ×6, first 2 shown]
	v_mov_b32_e32 v0, v19
	s_branch .LBB18_1
.LBB18_5:
	v_lshl_add_u64 v[22:23], v[20:21], 2, s[2:3]
	v_dual_mov_b32 v18, v6 :: v_dual_mov_b32 v20, v0
	v_dual_mov_b32 v6, v8 :: v_dual_mov_b32 v7, v9
	v_dual_mov_b32 v8, v14 :: v_dual_mov_b32 v9, v15
	v_dual_mov_b32 v14, v16 :: v_dual_mov_b32 v15, v17
	v_dual_mov_b32 v16, v10 :: v_dual_mov_b32 v17, v11
	v_dual_mov_b32 v0, v12 :: v_dual_mov_b32 v1, v13
	s_clause 0x4
	global_store_b96 v[22:23], v[18:20], off
	global_store_b128 v[22:23], v[6:9], off offset:12
	global_store_b128 v[22:23], v[14:17], off offset:28
	;; [unrolled: 1-line block ×3, first 2 shown]
	global_store_b32 v[22:23], v4, off offset:60
	s_endpgm
	.section	.rodata,"a",@progbits
	.p2align	6, 0x0
	.amdhsa_kernel _Z6kernelI2upiLj256ELj16ELj100EEvPKT0_PS1_
		.amdhsa_group_segment_fixed_size 1024
		.amdhsa_private_segment_fixed_size 0
		.amdhsa_kernarg_size 16
		.amdhsa_user_sgpr_count 2
		.amdhsa_user_sgpr_dispatch_ptr 0
		.amdhsa_user_sgpr_queue_ptr 0
		.amdhsa_user_sgpr_kernarg_segment_ptr 1
		.amdhsa_user_sgpr_dispatch_id 0
		.amdhsa_user_sgpr_kernarg_preload_length 0
		.amdhsa_user_sgpr_kernarg_preload_offset 0
		.amdhsa_user_sgpr_private_segment_size 0
		.amdhsa_wavefront_size32 1
		.amdhsa_uses_dynamic_stack 0
		.amdhsa_enable_private_segment 0
		.amdhsa_system_sgpr_workgroup_id_x 1
		.amdhsa_system_sgpr_workgroup_id_y 0
		.amdhsa_system_sgpr_workgroup_id_z 0
		.amdhsa_system_sgpr_workgroup_info 0
		.amdhsa_system_vgpr_workitem_id 0
		.amdhsa_next_free_vgpr 33
		.amdhsa_next_free_sgpr 7
		.amdhsa_named_barrier_count 0
		.amdhsa_reserve_vcc 1
		.amdhsa_float_round_mode_32 0
		.amdhsa_float_round_mode_16_64 0
		.amdhsa_float_denorm_mode_32 3
		.amdhsa_float_denorm_mode_16_64 3
		.amdhsa_fp16_overflow 0
		.amdhsa_memory_ordered 1
		.amdhsa_forward_progress 1
		.amdhsa_inst_pref_size 4
		.amdhsa_round_robin_scheduling 0
		.amdhsa_exception_fp_ieee_invalid_op 0
		.amdhsa_exception_fp_denorm_src 0
		.amdhsa_exception_fp_ieee_div_zero 0
		.amdhsa_exception_fp_ieee_overflow 0
		.amdhsa_exception_fp_ieee_underflow 0
		.amdhsa_exception_fp_ieee_inexact 0
		.amdhsa_exception_int_div_zero 0
	.end_amdhsa_kernel
	.section	.text._Z6kernelI2upiLj256ELj16ELj100EEvPKT0_PS1_,"axG",@progbits,_Z6kernelI2upiLj256ELj16ELj100EEvPKT0_PS1_,comdat
.Lfunc_end18:
	.size	_Z6kernelI2upiLj256ELj16ELj100EEvPKT0_PS1_, .Lfunc_end18-_Z6kernelI2upiLj256ELj16ELj100EEvPKT0_PS1_
                                        ; -- End function
	.set _Z6kernelI2upiLj256ELj16ELj100EEvPKT0_PS1_.num_vgpr, 33
	.set _Z6kernelI2upiLj256ELj16ELj100EEvPKT0_PS1_.num_agpr, 0
	.set _Z6kernelI2upiLj256ELj16ELj100EEvPKT0_PS1_.numbered_sgpr, 7
	.set _Z6kernelI2upiLj256ELj16ELj100EEvPKT0_PS1_.num_named_barrier, 0
	.set _Z6kernelI2upiLj256ELj16ELj100EEvPKT0_PS1_.private_seg_size, 0
	.set _Z6kernelI2upiLj256ELj16ELj100EEvPKT0_PS1_.uses_vcc, 1
	.set _Z6kernelI2upiLj256ELj16ELj100EEvPKT0_PS1_.uses_flat_scratch, 0
	.set _Z6kernelI2upiLj256ELj16ELj100EEvPKT0_PS1_.has_dyn_sized_stack, 0
	.set _Z6kernelI2upiLj256ELj16ELj100EEvPKT0_PS1_.has_recursion, 0
	.set _Z6kernelI2upiLj256ELj16ELj100EEvPKT0_PS1_.has_indirect_call, 0
	.section	.AMDGPU.csdata,"",@progbits
; Kernel info:
; codeLenInByte = 452
; TotalNumSgprs: 9
; NumVgprs: 33
; ScratchSize: 0
; MemoryBound: 1
; FloatMode: 240
; IeeeMode: 1
; LDSByteSize: 1024 bytes/workgroup (compile time only)
; SGPRBlocks: 0
; VGPRBlocks: 2
; NumSGPRsForWavesPerEU: 9
; NumVGPRsForWavesPerEU: 33
; NamedBarCnt: 0
; Occupancy: 16
; WaveLimiterHint : 0
; COMPUTE_PGM_RSRC2:SCRATCH_EN: 0
; COMPUTE_PGM_RSRC2:USER_SGPR: 2
; COMPUTE_PGM_RSRC2:TRAP_HANDLER: 0
; COMPUTE_PGM_RSRC2:TGID_X_EN: 1
; COMPUTE_PGM_RSRC2:TGID_Y_EN: 0
; COMPUTE_PGM_RSRC2:TGID_Z_EN: 0
; COMPUTE_PGM_RSRC2:TIDIG_COMP_CNT: 0
	.section	.text._Z6kernelI2upiLj256ELj32ELj100EEvPKT0_PS1_,"axG",@progbits,_Z6kernelI2upiLj256ELj32ELj100EEvPKT0_PS1_,comdat
	.protected	_Z6kernelI2upiLj256ELj32ELj100EEvPKT0_PS1_ ; -- Begin function _Z6kernelI2upiLj256ELj32ELj100EEvPKT0_PS1_
	.globl	_Z6kernelI2upiLj256ELj32ELj100EEvPKT0_PS1_
	.p2align	8
	.type	_Z6kernelI2upiLj256ELj32ELj100EEvPKT0_PS1_,@function
_Z6kernelI2upiLj256ELj32ELj100EEvPKT0_PS1_: ; @_Z6kernelI2upiLj256ELj32ELj100EEvPKT0_PS1_
; %bb.0:
	s_load_b128 s[0:3], s[0:1], 0x0
	s_bfe_u32 s4, ttmp6, 0x4000c
	s_and_b32 s5, ttmp6, 15
	s_add_co_i32 s4, s4, 1
	s_getreg_b32 s6, hwreg(HW_REG_IB_STS2, 6, 4)
	s_mul_i32 s4, ttmp9, s4
	v_dual_lshlrev_b32 v1, 5, v0 :: v_dual_mov_b32 v37, 0
	s_add_co_i32 s5, s5, s4
	s_cmp_eq_u32 s6, 0
	v_cmp_ne_u32_e32 vcc_lo, 0, v0
	s_cselect_b32 s4, ttmp9, s5
	s_delay_alu instid0(SALU_CYCLE_1) | instskip(SKIP_1) | instid1(VALU_DEP_1)
	v_lshl_or_b32 v36, s4, 13, v1
	s_wait_kmcnt 0x0
	v_lshl_add_u64 v[34:35], v[36:37], 2, s[0:1]
	s_movk_i32 s0, 0x64
	s_clause 0x7
	global_load_b128 v[6:9], v[34:35], off offset:48
	global_load_b128 v[10:13], v[34:35], off offset:32
	global_load_b128 v[14:17], v[34:35], off
	global_load_b128 v[18:21], v[34:35], off offset:16
	global_load_b128 v[2:5], v[34:35], off offset:112
	;; [unrolled: 1-line block ×5, first 2 shown]
	s_wait_loadcnt 0x5
	s_wait_xcnt 0x0
	v_dual_lshlrev_b32 v34, 2, v0 :: v_dual_mov_b32 v0, v15
	s_delay_alu instid0(VALU_DEP_1)
	v_add_nc_u32_e32 v64, -4, v34
.LBB19_1:                               ; =>This Inner Loop Header: Depth=1
	v_mov_b32_e32 v35, v14
	s_wait_loadcnt 0x3
	ds_store_b32 v34, v5
	s_wait_loadcnt_dscnt 0x0
	s_barrier_signal -1
	s_barrier_wait -1
	s_and_saveexec_b32 s1, vcc_lo
; %bb.2:                                ;   in Loop: Header=BB19_1 Depth=1
	ds_load_b32 v14, v64
; %bb.3:                                ;   in Loop: Header=BB19_1 Depth=1
	s_or_b32 exec_lo, exec_lo, s1
	s_add_co_i32 s0, s0, -1
	s_wait_dscnt 0x0
	s_cmp_lg_u32 s0, 0
	s_barrier_signal -1
	s_barrier_wait -1
	s_cbranch_scc0 .LBB19_5
; %bb.4:                                ;   in Loop: Header=BB19_1 Depth=1
	v_dual_mov_b32 v1, v16 :: v_dual_mov_b32 v38, v17
	v_dual_mov_b32 v39, v18 :: v_dual_mov_b32 v40, v19
	;; [unrolled: 1-line block ×14, first 2 shown]
	v_mov_b32_e32 v4, v3
	v_mov_b64_e32 v[16:17], v[0:1]
	v_mov_b64_e32 v[18:19], v[38:39]
	;; [unrolled: 1-line block ×14, first 2 shown]
	v_mov_b32_e32 v0, v35
	s_branch .LBB19_1
.LBB19_5:
	v_lshl_add_u64 v[38:39], v[36:37], 2, s[2:3]
	v_dual_mov_b32 v34, v14 :: v_dual_mov_b32 v36, v0
	v_dual_mov_b32 v14, v16 :: v_dual_mov_b32 v15, v17
	;; [unrolled: 1-line block ×3, first 2 shown]
	s_clause 0x1
	global_store_b96 v[38:39], v[34:36], off
	global_store_b128 v[38:39], v[14:17], off offset:12
	s_wait_xcnt 0x0
	v_dual_mov_b32 v14, v20 :: v_dual_mov_b32 v15, v21
	v_dual_mov_b32 v16, v10 :: v_dual_mov_b32 v17, v11
	;; [unrolled: 1-line block ×11, first 2 shown]
	s_clause 0x6
	global_store_b128 v[38:39], v[14:17], off offset:28
	global_store_b128 v[38:39], v[10:13], off offset:44
	;; [unrolled: 1-line block ×6, first 2 shown]
	global_store_b32 v[38:39], v4, off offset:124
	s_sendmsg sendmsg(MSG_DEALLOC_VGPRS)
	s_endpgm
	.section	.rodata,"a",@progbits
	.p2align	6, 0x0
	.amdhsa_kernel _Z6kernelI2upiLj256ELj32ELj100EEvPKT0_PS1_
		.amdhsa_group_segment_fixed_size 1024
		.amdhsa_private_segment_fixed_size 0
		.amdhsa_kernarg_size 16
		.amdhsa_user_sgpr_count 2
		.amdhsa_user_sgpr_dispatch_ptr 0
		.amdhsa_user_sgpr_queue_ptr 0
		.amdhsa_user_sgpr_kernarg_segment_ptr 1
		.amdhsa_user_sgpr_dispatch_id 0
		.amdhsa_user_sgpr_kernarg_preload_length 0
		.amdhsa_user_sgpr_kernarg_preload_offset 0
		.amdhsa_user_sgpr_private_segment_size 0
		.amdhsa_wavefront_size32 1
		.amdhsa_uses_dynamic_stack 0
		.amdhsa_enable_private_segment 0
		.amdhsa_system_sgpr_workgroup_id_x 1
		.amdhsa_system_sgpr_workgroup_id_y 0
		.amdhsa_system_sgpr_workgroup_id_z 0
		.amdhsa_system_sgpr_workgroup_info 0
		.amdhsa_system_vgpr_workitem_id 0
		.amdhsa_next_free_vgpr 65
		.amdhsa_next_free_sgpr 7
		.amdhsa_named_barrier_count 0
		.amdhsa_reserve_vcc 1
		.amdhsa_float_round_mode_32 0
		.amdhsa_float_round_mode_16_64 0
		.amdhsa_float_denorm_mode_32 3
		.amdhsa_float_denorm_mode_16_64 3
		.amdhsa_fp16_overflow 0
		.amdhsa_memory_ordered 1
		.amdhsa_forward_progress 1
		.amdhsa_inst_pref_size 6
		.amdhsa_round_robin_scheduling 0
		.amdhsa_exception_fp_ieee_invalid_op 0
		.amdhsa_exception_fp_denorm_src 0
		.amdhsa_exception_fp_ieee_div_zero 0
		.amdhsa_exception_fp_ieee_overflow 0
		.amdhsa_exception_fp_ieee_underflow 0
		.amdhsa_exception_fp_ieee_inexact 0
		.amdhsa_exception_int_div_zero 0
	.end_amdhsa_kernel
	.section	.text._Z6kernelI2upiLj256ELj32ELj100EEvPKT0_PS1_,"axG",@progbits,_Z6kernelI2upiLj256ELj32ELj100EEvPKT0_PS1_,comdat
.Lfunc_end19:
	.size	_Z6kernelI2upiLj256ELj32ELj100EEvPKT0_PS1_, .Lfunc_end19-_Z6kernelI2upiLj256ELj32ELj100EEvPKT0_PS1_
                                        ; -- End function
	.set _Z6kernelI2upiLj256ELj32ELj100EEvPKT0_PS1_.num_vgpr, 65
	.set _Z6kernelI2upiLj256ELj32ELj100EEvPKT0_PS1_.num_agpr, 0
	.set _Z6kernelI2upiLj256ELj32ELj100EEvPKT0_PS1_.numbered_sgpr, 7
	.set _Z6kernelI2upiLj256ELj32ELj100EEvPKT0_PS1_.num_named_barrier, 0
	.set _Z6kernelI2upiLj256ELj32ELj100EEvPKT0_PS1_.private_seg_size, 0
	.set _Z6kernelI2upiLj256ELj32ELj100EEvPKT0_PS1_.uses_vcc, 1
	.set _Z6kernelI2upiLj256ELj32ELj100EEvPKT0_PS1_.uses_flat_scratch, 0
	.set _Z6kernelI2upiLj256ELj32ELj100EEvPKT0_PS1_.has_dyn_sized_stack, 0
	.set _Z6kernelI2upiLj256ELj32ELj100EEvPKT0_PS1_.has_recursion, 0
	.set _Z6kernelI2upiLj256ELj32ELj100EEvPKT0_PS1_.has_indirect_call, 0
	.section	.AMDGPU.csdata,"",@progbits
; Kernel info:
; codeLenInByte = 720
; TotalNumSgprs: 9
; NumVgprs: 65
; ScratchSize: 0
; MemoryBound: 1
; FloatMode: 240
; IeeeMode: 1
; LDSByteSize: 1024 bytes/workgroup (compile time only)
; SGPRBlocks: 0
; VGPRBlocks: 4
; NumSGPRsForWavesPerEU: 9
; NumVGPRsForWavesPerEU: 65
; NamedBarCnt: 0
; Occupancy: 12
; WaveLimiterHint : 0
; COMPUTE_PGM_RSRC2:SCRATCH_EN: 0
; COMPUTE_PGM_RSRC2:USER_SGPR: 2
; COMPUTE_PGM_RSRC2:TRAP_HANDLER: 0
; COMPUTE_PGM_RSRC2:TGID_X_EN: 1
; COMPUTE_PGM_RSRC2:TGID_Y_EN: 0
; COMPUTE_PGM_RSRC2:TGID_Z_EN: 0
; COMPUTE_PGM_RSRC2:TIDIG_COMP_CNT: 0
	.section	.text._Z6kernelI2upfLj256ELj1ELj100EEvPKT0_PS1_,"axG",@progbits,_Z6kernelI2upfLj256ELj1ELj100EEvPKT0_PS1_,comdat
	.protected	_Z6kernelI2upfLj256ELj1ELj100EEvPKT0_PS1_ ; -- Begin function _Z6kernelI2upfLj256ELj1ELj100EEvPKT0_PS1_
	.globl	_Z6kernelI2upfLj256ELj1ELj100EEvPKT0_PS1_
	.p2align	8
	.type	_Z6kernelI2upfLj256ELj1ELj100EEvPKT0_PS1_,@function
_Z6kernelI2upfLj256ELj1ELj100EEvPKT0_PS1_: ; @_Z6kernelI2upfLj256ELj1ELj100EEvPKT0_PS1_
; %bb.0:
	s_load_b128 s[0:3], s[0:1], 0x0
	s_bfe_u32 s4, ttmp6, 0x4000c
	s_and_b32 s5, ttmp6, 15
	s_add_co_i32 s4, s4, 1
	s_getreg_b32 s6, hwreg(HW_REG_IB_STS2, 6, 4)
	s_mul_i32 s4, ttmp9, s4
	v_dual_mov_b32 v3, 0 :: v_dual_lshlrev_b32 v4, 2, v0
	s_add_co_i32 s5, s5, s4
	s_cmp_eq_u32 s6, 0
	v_cmp_ne_u32_e32 vcc_lo, 0, v0
	s_cselect_b32 s4, ttmp9, s5
	s_delay_alu instid0(SALU_CYCLE_1)
	v_lshl_or_b32 v2, s4, 8, v0
	v_add_nc_u32_e32 v0, -4, v4
	s_wait_kmcnt 0x0
	global_load_b32 v1, v2, s[0:1] scale_offset
	s_wait_xcnt 0x0
	s_movk_i32 s0, 0x64
	s_branch .LBB20_2
.LBB20_1:                               ;   in Loop: Header=BB20_2 Depth=1
	s_or_b32 exec_lo, exec_lo, s1
	s_add_co_i32 s0, s0, -1
	s_wait_dscnt 0x0
	s_cmp_lg_u32 s0, 0
	s_barrier_signal -1
	s_barrier_wait -1
	s_cbranch_scc0 .LBB20_4
.LBB20_2:                               ; =>This Inner Loop Header: Depth=1
	s_wait_loadcnt 0x0
	ds_store_b32 v4, v1
	s_wait_dscnt 0x0
	s_barrier_signal -1
	s_barrier_wait -1
	s_and_saveexec_b32 s1, vcc_lo
	s_cbranch_execz .LBB20_1
; %bb.3:                                ;   in Loop: Header=BB20_2 Depth=1
	ds_load_b32 v1, v0
	s_branch .LBB20_1
.LBB20_4:
	v_lshl_add_u64 v[2:3], v[2:3], 2, s[2:3]
	global_store_b32 v[2:3], v1, off
	s_endpgm
	.section	.rodata,"a",@progbits
	.p2align	6, 0x0
	.amdhsa_kernel _Z6kernelI2upfLj256ELj1ELj100EEvPKT0_PS1_
		.amdhsa_group_segment_fixed_size 1024
		.amdhsa_private_segment_fixed_size 0
		.amdhsa_kernarg_size 16
		.amdhsa_user_sgpr_count 2
		.amdhsa_user_sgpr_dispatch_ptr 0
		.amdhsa_user_sgpr_queue_ptr 0
		.amdhsa_user_sgpr_kernarg_segment_ptr 1
		.amdhsa_user_sgpr_dispatch_id 0
		.amdhsa_user_sgpr_kernarg_preload_length 0
		.amdhsa_user_sgpr_kernarg_preload_offset 0
		.amdhsa_user_sgpr_private_segment_size 0
		.amdhsa_wavefront_size32 1
		.amdhsa_uses_dynamic_stack 0
		.amdhsa_enable_private_segment 0
		.amdhsa_system_sgpr_workgroup_id_x 1
		.amdhsa_system_sgpr_workgroup_id_y 0
		.amdhsa_system_sgpr_workgroup_id_z 0
		.amdhsa_system_sgpr_workgroup_info 0
		.amdhsa_system_vgpr_workitem_id 0
		.amdhsa_next_free_vgpr 5
		.amdhsa_next_free_sgpr 7
		.amdhsa_named_barrier_count 0
		.amdhsa_reserve_vcc 1
		.amdhsa_float_round_mode_32 0
		.amdhsa_float_round_mode_16_64 0
		.amdhsa_float_denorm_mode_32 3
		.amdhsa_float_denorm_mode_16_64 3
		.amdhsa_fp16_overflow 0
		.amdhsa_memory_ordered 1
		.amdhsa_forward_progress 1
		.amdhsa_inst_pref_size 2
		.amdhsa_round_robin_scheduling 0
		.amdhsa_exception_fp_ieee_invalid_op 0
		.amdhsa_exception_fp_denorm_src 0
		.amdhsa_exception_fp_ieee_div_zero 0
		.amdhsa_exception_fp_ieee_overflow 0
		.amdhsa_exception_fp_ieee_underflow 0
		.amdhsa_exception_fp_ieee_inexact 0
		.amdhsa_exception_int_div_zero 0
	.end_amdhsa_kernel
	.section	.text._Z6kernelI2upfLj256ELj1ELj100EEvPKT0_PS1_,"axG",@progbits,_Z6kernelI2upfLj256ELj1ELj100EEvPKT0_PS1_,comdat
.Lfunc_end20:
	.size	_Z6kernelI2upfLj256ELj1ELj100EEvPKT0_PS1_, .Lfunc_end20-_Z6kernelI2upfLj256ELj1ELj100EEvPKT0_PS1_
                                        ; -- End function
	.set _Z6kernelI2upfLj256ELj1ELj100EEvPKT0_PS1_.num_vgpr, 5
	.set _Z6kernelI2upfLj256ELj1ELj100EEvPKT0_PS1_.num_agpr, 0
	.set _Z6kernelI2upfLj256ELj1ELj100EEvPKT0_PS1_.numbered_sgpr, 7
	.set _Z6kernelI2upfLj256ELj1ELj100EEvPKT0_PS1_.num_named_barrier, 0
	.set _Z6kernelI2upfLj256ELj1ELj100EEvPKT0_PS1_.private_seg_size, 0
	.set _Z6kernelI2upfLj256ELj1ELj100EEvPKT0_PS1_.uses_vcc, 1
	.set _Z6kernelI2upfLj256ELj1ELj100EEvPKT0_PS1_.uses_flat_scratch, 0
	.set _Z6kernelI2upfLj256ELj1ELj100EEvPKT0_PS1_.has_dyn_sized_stack, 0
	.set _Z6kernelI2upfLj256ELj1ELj100EEvPKT0_PS1_.has_recursion, 0
	.set _Z6kernelI2upfLj256ELj1ELj100EEvPKT0_PS1_.has_indirect_call, 0
	.section	.AMDGPU.csdata,"",@progbits
; Kernel info:
; codeLenInByte = 196
; TotalNumSgprs: 9
; NumVgprs: 5
; ScratchSize: 0
; MemoryBound: 0
; FloatMode: 240
; IeeeMode: 1
; LDSByteSize: 1024 bytes/workgroup (compile time only)
; SGPRBlocks: 0
; VGPRBlocks: 0
; NumSGPRsForWavesPerEU: 9
; NumVGPRsForWavesPerEU: 5
; NamedBarCnt: 0
; Occupancy: 16
; WaveLimiterHint : 0
; COMPUTE_PGM_RSRC2:SCRATCH_EN: 0
; COMPUTE_PGM_RSRC2:USER_SGPR: 2
; COMPUTE_PGM_RSRC2:TRAP_HANDLER: 0
; COMPUTE_PGM_RSRC2:TGID_X_EN: 1
; COMPUTE_PGM_RSRC2:TGID_Y_EN: 0
; COMPUTE_PGM_RSRC2:TGID_Z_EN: 0
; COMPUTE_PGM_RSRC2:TIDIG_COMP_CNT: 0
	.section	.text._Z6kernelI2upfLj256ELj3ELj100EEvPKT0_PS1_,"axG",@progbits,_Z6kernelI2upfLj256ELj3ELj100EEvPKT0_PS1_,comdat
	.protected	_Z6kernelI2upfLj256ELj3ELj100EEvPKT0_PS1_ ; -- Begin function _Z6kernelI2upfLj256ELj3ELj100EEvPKT0_PS1_
	.globl	_Z6kernelI2upfLj256ELj3ELj100EEvPKT0_PS1_
	.p2align	8
	.type	_Z6kernelI2upfLj256ELj3ELj100EEvPKT0_PS1_,@function
_Z6kernelI2upfLj256ELj3ELj100EEvPKT0_PS1_: ; @_Z6kernelI2upfLj256ELj3ELj100EEvPKT0_PS1_
; %bb.0:
	s_bfe_u32 s4, ttmp6, 0x4000c
	s_and_b32 s5, ttmp6, 15
	s_add_co_i32 s4, s4, 1
	s_load_b128 s[0:3], s[0:1], 0x0
	s_mul_i32 s4, ttmp9, s4
	s_getreg_b32 s6, hwreg(HW_REG_IB_STS2, 6, 4)
	s_add_co_i32 s5, s5, s4
	s_cmp_eq_u32 s6, 0
	v_dual_mov_b32 v3, 0 :: v_dual_lshlrev_b32 v9, 2, v0
	s_cselect_b32 s4, ttmp9, s5
	v_cmp_ne_u32_e32 vcc_lo, 0, v0
	v_lshl_or_b32 v1, s4, 8, v0
	s_delay_alu instid0(VALU_DEP_3) | instskip(SKIP_1) | instid1(VALU_DEP_3)
	v_dual_mov_b32 v5, v3 :: v_dual_mov_b32 v7, v3
	v_add_nc_u32_e32 v10, -4, v9
	v_lshl_add_u32 v2, v1, 1, v1
	s_delay_alu instid0(VALU_DEP_1)
	v_dual_add_nc_u32 v4, 1, v2 :: v_dual_add_nc_u32 v6, 2, v2
	s_wait_kmcnt 0x0
	s_clause 0x2
	global_load_b32 v8, v2, s[0:1] scale_offset
	global_load_b32 v1, v4, s[0:1] scale_offset
	;; [unrolled: 1-line block ×3, first 2 shown]
	s_wait_xcnt 0x0
	s_movk_i32 s0, 0x64
.LBB21_1:                               ; =>This Inner Loop Header: Depth=1
	s_wait_loadcnt 0x1
	v_dual_mov_b32 v0, v1 :: v_dual_mov_b32 v1, v8
	s_wait_loadcnt 0x0
	ds_store_b32 v9, v11
	s_wait_dscnt 0x0
	s_barrier_signal -1
	s_barrier_wait -1
	s_and_saveexec_b32 s1, vcc_lo
; %bb.2:                                ;   in Loop: Header=BB21_1 Depth=1
	ds_load_b32 v8, v10
; %bb.3:                                ;   in Loop: Header=BB21_1 Depth=1
	s_or_b32 exec_lo, exec_lo, s1
	s_add_co_i32 s0, s0, -1
	s_wait_dscnt 0x0
	s_cmp_lg_u32 s0, 0
	s_barrier_signal -1
	s_barrier_wait -1
	s_cbranch_scc0 .LBB21_5
; %bb.4:                                ;   in Loop: Header=BB21_1 Depth=1
	v_mov_b32_e32 v11, v0
	s_branch .LBB21_1
.LBB21_5:
	v_lshl_add_u64 v[2:3], v[2:3], 2, s[2:3]
	v_lshl_add_u64 v[4:5], v[4:5], 2, s[2:3]
	;; [unrolled: 1-line block ×3, first 2 shown]
	s_clause 0x2
	global_store_b32 v[2:3], v8, off
	global_store_b32 v[4:5], v1, off
	;; [unrolled: 1-line block ×3, first 2 shown]
	s_endpgm
	.section	.rodata,"a",@progbits
	.p2align	6, 0x0
	.amdhsa_kernel _Z6kernelI2upfLj256ELj3ELj100EEvPKT0_PS1_
		.amdhsa_group_segment_fixed_size 1024
		.amdhsa_private_segment_fixed_size 0
		.amdhsa_kernarg_size 16
		.amdhsa_user_sgpr_count 2
		.amdhsa_user_sgpr_dispatch_ptr 0
		.amdhsa_user_sgpr_queue_ptr 0
		.amdhsa_user_sgpr_kernarg_segment_ptr 1
		.amdhsa_user_sgpr_dispatch_id 0
		.amdhsa_user_sgpr_kernarg_preload_length 0
		.amdhsa_user_sgpr_kernarg_preload_offset 0
		.amdhsa_user_sgpr_private_segment_size 0
		.amdhsa_wavefront_size32 1
		.amdhsa_uses_dynamic_stack 0
		.amdhsa_enable_private_segment 0
		.amdhsa_system_sgpr_workgroup_id_x 1
		.amdhsa_system_sgpr_workgroup_id_y 0
		.amdhsa_system_sgpr_workgroup_id_z 0
		.amdhsa_system_sgpr_workgroup_info 0
		.amdhsa_system_vgpr_workitem_id 0
		.amdhsa_next_free_vgpr 12
		.amdhsa_next_free_sgpr 7
		.amdhsa_named_barrier_count 0
		.amdhsa_reserve_vcc 1
		.amdhsa_float_round_mode_32 0
		.amdhsa_float_round_mode_16_64 0
		.amdhsa_float_denorm_mode_32 3
		.amdhsa_float_denorm_mode_16_64 3
		.amdhsa_fp16_overflow 0
		.amdhsa_memory_ordered 1
		.amdhsa_forward_progress 1
		.amdhsa_inst_pref_size 3
		.amdhsa_round_robin_scheduling 0
		.amdhsa_exception_fp_ieee_invalid_op 0
		.amdhsa_exception_fp_denorm_src 0
		.amdhsa_exception_fp_ieee_div_zero 0
		.amdhsa_exception_fp_ieee_overflow 0
		.amdhsa_exception_fp_ieee_underflow 0
		.amdhsa_exception_fp_ieee_inexact 0
		.amdhsa_exception_int_div_zero 0
	.end_amdhsa_kernel
	.section	.text._Z6kernelI2upfLj256ELj3ELj100EEvPKT0_PS1_,"axG",@progbits,_Z6kernelI2upfLj256ELj3ELj100EEvPKT0_PS1_,comdat
.Lfunc_end21:
	.size	_Z6kernelI2upfLj256ELj3ELj100EEvPKT0_PS1_, .Lfunc_end21-_Z6kernelI2upfLj256ELj3ELj100EEvPKT0_PS1_
                                        ; -- End function
	.set _Z6kernelI2upfLj256ELj3ELj100EEvPKT0_PS1_.num_vgpr, 12
	.set _Z6kernelI2upfLj256ELj3ELj100EEvPKT0_PS1_.num_agpr, 0
	.set _Z6kernelI2upfLj256ELj3ELj100EEvPKT0_PS1_.numbered_sgpr, 7
	.set _Z6kernelI2upfLj256ELj3ELj100EEvPKT0_PS1_.num_named_barrier, 0
	.set _Z6kernelI2upfLj256ELj3ELj100EEvPKT0_PS1_.private_seg_size, 0
	.set _Z6kernelI2upfLj256ELj3ELj100EEvPKT0_PS1_.uses_vcc, 1
	.set _Z6kernelI2upfLj256ELj3ELj100EEvPKT0_PS1_.uses_flat_scratch, 0
	.set _Z6kernelI2upfLj256ELj3ELj100EEvPKT0_PS1_.has_dyn_sized_stack, 0
	.set _Z6kernelI2upfLj256ELj3ELj100EEvPKT0_PS1_.has_recursion, 0
	.set _Z6kernelI2upfLj256ELj3ELj100EEvPKT0_PS1_.has_indirect_call, 0
	.section	.AMDGPU.csdata,"",@progbits
; Kernel info:
; codeLenInByte = 316
; TotalNumSgprs: 9
; NumVgprs: 12
; ScratchSize: 0
; MemoryBound: 0
; FloatMode: 240
; IeeeMode: 1
; LDSByteSize: 1024 bytes/workgroup (compile time only)
; SGPRBlocks: 0
; VGPRBlocks: 0
; NumSGPRsForWavesPerEU: 9
; NumVGPRsForWavesPerEU: 12
; NamedBarCnt: 0
; Occupancy: 16
; WaveLimiterHint : 0
; COMPUTE_PGM_RSRC2:SCRATCH_EN: 0
; COMPUTE_PGM_RSRC2:USER_SGPR: 2
; COMPUTE_PGM_RSRC2:TRAP_HANDLER: 0
; COMPUTE_PGM_RSRC2:TGID_X_EN: 1
; COMPUTE_PGM_RSRC2:TGID_Y_EN: 0
; COMPUTE_PGM_RSRC2:TGID_Z_EN: 0
; COMPUTE_PGM_RSRC2:TIDIG_COMP_CNT: 0
	.section	.text._Z6kernelI2upfLj256ELj4ELj100EEvPKT0_PS1_,"axG",@progbits,_Z6kernelI2upfLj256ELj4ELj100EEvPKT0_PS1_,comdat
	.protected	_Z6kernelI2upfLj256ELj4ELj100EEvPKT0_PS1_ ; -- Begin function _Z6kernelI2upfLj256ELj4ELj100EEvPKT0_PS1_
	.globl	_Z6kernelI2upfLj256ELj4ELj100EEvPKT0_PS1_
	.p2align	8
	.type	_Z6kernelI2upfLj256ELj4ELj100EEvPKT0_PS1_,@function
_Z6kernelI2upfLj256ELj4ELj100EEvPKT0_PS1_: ; @_Z6kernelI2upfLj256ELj4ELj100EEvPKT0_PS1_
; %bb.0:
	s_load_b128 s[0:3], s[0:1], 0x0
	s_bfe_u32 s4, ttmp6, 0x4000c
	s_and_b32 s5, ttmp6, 15
	s_add_co_i32 s4, s4, 1
	s_getreg_b32 s6, hwreg(HW_REG_IB_STS2, 6, 4)
	s_mul_i32 s4, ttmp9, s4
	v_dual_lshlrev_b32 v1, 2, v0 :: v_dual_mov_b32 v11, 0
	s_add_co_i32 s5, s5, s4
	s_cmp_eq_u32 s6, 0
	v_cmp_ne_u32_e32 vcc_lo, 0, v0
	s_cselect_b32 s4, ttmp9, s5
	s_delay_alu instid0(SALU_CYCLE_1) | instskip(SKIP_1) | instid1(VALU_DEP_1)
	v_lshl_or_b32 v10, s4, 10, v1
	s_wait_kmcnt 0x0
	v_lshl_add_u64 v[2:3], v[10:11], 2, s[0:1]
	s_movk_i32 s0, 0x64
	global_load_b128 v[2:5], v[2:3], off
	s_wait_loadcnt 0x0
	v_dual_add_nc_u32 v12, -4, v1 :: v_dual_mov_b32 v0, v3
.LBB22_1:                               ; =>This Inner Loop Header: Depth=1
	s_delay_alu instid0(VALU_DEP_1)
	v_dual_mov_b32 v3, v4 :: v_dual_mov_b32 v4, v0
	v_mov_b32_e32 v0, v2
	ds_store_b32 v1, v5
	s_wait_dscnt 0x0
	v_mov_b64_e32 v[8:9], v[2:3]
	s_barrier_signal -1
	v_mov_b64_e32 v[6:7], v[0:1]
	s_barrier_wait -1
	s_and_saveexec_b32 s1, vcc_lo
	s_cbranch_execz .LBB22_3
; %bb.2:                                ;   in Loop: Header=BB22_1 Depth=1
	ds_load_b32 v6, v12
	s_wait_dscnt 0x0
	v_mov_b32_e32 v2, v6
.LBB22_3:                               ;   in Loop: Header=BB22_1 Depth=1
	s_or_b32 exec_lo, exec_lo, s1
	s_add_co_i32 s0, s0, -1
	s_delay_alu instid0(SALU_CYCLE_1)
	s_cmp_lg_u32 s0, 0
	s_barrier_signal -1
	s_barrier_wait -1
	s_cbranch_scc0 .LBB22_5
; %bb.4:                                ;   in Loop: Header=BB22_1 Depth=1
	v_mov_b32_e32 v5, v3
	s_branch .LBB22_1
.LBB22_5:
	v_dual_mov_b32 v7, v0 :: v_dual_mov_b32 v8, v4
	v_mov_b32_e32 v9, v3
	v_lshl_add_u64 v[0:1], v[10:11], 2, s[2:3]
	global_store_b128 v[0:1], v[6:9], off
	s_endpgm
	.section	.rodata,"a",@progbits
	.p2align	6, 0x0
	.amdhsa_kernel _Z6kernelI2upfLj256ELj4ELj100EEvPKT0_PS1_
		.amdhsa_group_segment_fixed_size 1024
		.amdhsa_private_segment_fixed_size 0
		.amdhsa_kernarg_size 16
		.amdhsa_user_sgpr_count 2
		.amdhsa_user_sgpr_dispatch_ptr 0
		.amdhsa_user_sgpr_queue_ptr 0
		.amdhsa_user_sgpr_kernarg_segment_ptr 1
		.amdhsa_user_sgpr_dispatch_id 0
		.amdhsa_user_sgpr_kernarg_preload_length 0
		.amdhsa_user_sgpr_kernarg_preload_offset 0
		.amdhsa_user_sgpr_private_segment_size 0
		.amdhsa_wavefront_size32 1
		.amdhsa_uses_dynamic_stack 0
		.amdhsa_enable_private_segment 0
		.amdhsa_system_sgpr_workgroup_id_x 1
		.amdhsa_system_sgpr_workgroup_id_y 0
		.amdhsa_system_sgpr_workgroup_id_z 0
		.amdhsa_system_sgpr_workgroup_info 0
		.amdhsa_system_vgpr_workitem_id 0
		.amdhsa_next_free_vgpr 13
		.amdhsa_next_free_sgpr 7
		.amdhsa_named_barrier_count 0
		.amdhsa_reserve_vcc 1
		.amdhsa_float_round_mode_32 0
		.amdhsa_float_round_mode_16_64 0
		.amdhsa_float_denorm_mode_32 3
		.amdhsa_float_denorm_mode_16_64 3
		.amdhsa_fp16_overflow 0
		.amdhsa_memory_ordered 1
		.amdhsa_forward_progress 1
		.amdhsa_inst_pref_size 2
		.amdhsa_round_robin_scheduling 0
		.amdhsa_exception_fp_ieee_invalid_op 0
		.amdhsa_exception_fp_denorm_src 0
		.amdhsa_exception_fp_ieee_div_zero 0
		.amdhsa_exception_fp_ieee_overflow 0
		.amdhsa_exception_fp_ieee_underflow 0
		.amdhsa_exception_fp_ieee_inexact 0
		.amdhsa_exception_int_div_zero 0
	.end_amdhsa_kernel
	.section	.text._Z6kernelI2upfLj256ELj4ELj100EEvPKT0_PS1_,"axG",@progbits,_Z6kernelI2upfLj256ELj4ELj100EEvPKT0_PS1_,comdat
.Lfunc_end22:
	.size	_Z6kernelI2upfLj256ELj4ELj100EEvPKT0_PS1_, .Lfunc_end22-_Z6kernelI2upfLj256ELj4ELj100EEvPKT0_PS1_
                                        ; -- End function
	.set _Z6kernelI2upfLj256ELj4ELj100EEvPKT0_PS1_.num_vgpr, 13
	.set _Z6kernelI2upfLj256ELj4ELj100EEvPKT0_PS1_.num_agpr, 0
	.set _Z6kernelI2upfLj256ELj4ELj100EEvPKT0_PS1_.numbered_sgpr, 7
	.set _Z6kernelI2upfLj256ELj4ELj100EEvPKT0_PS1_.num_named_barrier, 0
	.set _Z6kernelI2upfLj256ELj4ELj100EEvPKT0_PS1_.private_seg_size, 0
	.set _Z6kernelI2upfLj256ELj4ELj100EEvPKT0_PS1_.uses_vcc, 1
	.set _Z6kernelI2upfLj256ELj4ELj100EEvPKT0_PS1_.uses_flat_scratch, 0
	.set _Z6kernelI2upfLj256ELj4ELj100EEvPKT0_PS1_.has_dyn_sized_stack, 0
	.set _Z6kernelI2upfLj256ELj4ELj100EEvPKT0_PS1_.has_recursion, 0
	.set _Z6kernelI2upfLj256ELj4ELj100EEvPKT0_PS1_.has_indirect_call, 0
	.section	.AMDGPU.csdata,"",@progbits
; Kernel info:
; codeLenInByte = 256
; TotalNumSgprs: 9
; NumVgprs: 13
; ScratchSize: 0
; MemoryBound: 0
; FloatMode: 240
; IeeeMode: 1
; LDSByteSize: 1024 bytes/workgroup (compile time only)
; SGPRBlocks: 0
; VGPRBlocks: 0
; NumSGPRsForWavesPerEU: 9
; NumVGPRsForWavesPerEU: 13
; NamedBarCnt: 0
; Occupancy: 16
; WaveLimiterHint : 0
; COMPUTE_PGM_RSRC2:SCRATCH_EN: 0
; COMPUTE_PGM_RSRC2:USER_SGPR: 2
; COMPUTE_PGM_RSRC2:TRAP_HANDLER: 0
; COMPUTE_PGM_RSRC2:TGID_X_EN: 1
; COMPUTE_PGM_RSRC2:TGID_Y_EN: 0
; COMPUTE_PGM_RSRC2:TGID_Z_EN: 0
; COMPUTE_PGM_RSRC2:TIDIG_COMP_CNT: 0
	.section	.text._Z6kernelI2upfLj256ELj8ELj100EEvPKT0_PS1_,"axG",@progbits,_Z6kernelI2upfLj256ELj8ELj100EEvPKT0_PS1_,comdat
	.protected	_Z6kernelI2upfLj256ELj8ELj100EEvPKT0_PS1_ ; -- Begin function _Z6kernelI2upfLj256ELj8ELj100EEvPKT0_PS1_
	.globl	_Z6kernelI2upfLj256ELj8ELj100EEvPKT0_PS1_
	.p2align	8
	.type	_Z6kernelI2upfLj256ELj8ELj100EEvPKT0_PS1_,@function
_Z6kernelI2upfLj256ELj8ELj100EEvPKT0_PS1_: ; @_Z6kernelI2upfLj256ELj8ELj100EEvPKT0_PS1_
; %bb.0:
	s_load_b128 s[0:3], s[0:1], 0x0
	s_bfe_u32 s4, ttmp6, 0x4000c
	s_and_b32 s5, ttmp6, 15
	s_add_co_i32 s4, s4, 1
	s_getreg_b32 s6, hwreg(HW_REG_IB_STS2, 6, 4)
	s_mul_i32 s4, ttmp9, s4
	v_dual_lshlrev_b32 v1, 3, v0 :: v_dual_mov_b32 v19, 0
	s_add_co_i32 s5, s5, s4
	s_cmp_eq_u32 s6, 0
	v_cmp_ne_u32_e32 vcc_lo, 0, v0
	s_cselect_b32 s4, ttmp9, s5
	s_delay_alu instid0(SALU_CYCLE_1) | instskip(SKIP_1) | instid1(VALU_DEP_1)
	v_lshl_or_b32 v18, s4, 11, v1
	s_wait_kmcnt 0x0
	v_lshl_add_u64 v[2:3], v[18:19], 2, s[0:1]
	s_movk_i32 s0, 0x64
	s_clause 0x1
	global_load_b128 v[14:17], v[2:3], off
	global_load_b128 v[10:13], v[2:3], off offset:16
	s_wait_loadcnt 0x1
	v_dual_mov_b32 v0, v15 :: v_dual_lshlrev_b32 v1, 2, v0
	s_delay_alu instid0(VALU_DEP_1)
	v_add_nc_u32_e32 v20, -4, v1
.LBB23_1:                               ; =>This Inner Loop Header: Depth=1
	s_wait_loadcnt 0x0
	v_dual_mov_b32 v15, v12 :: v_dual_mov_b32 v12, v11
	v_dual_mov_b32 v11, v10 :: v_dual_mov_b32 v10, v17
	;; [unrolled: 1-line block ×3, first 2 shown]
	v_mov_b32_e32 v0, v14
	v_mov_b64_e32 v[8:9], v[6:7]
	v_mov_b64_e32 v[6:7], v[4:5]
	;; [unrolled: 1-line block ×3, first 2 shown]
	ds_store_b32 v1, v13
	v_mov_b64_e32 v[2:3], v[0:1]
	s_wait_dscnt 0x0
	s_barrier_signal -1
	s_barrier_wait -1
	s_and_saveexec_b32 s1, vcc_lo
	s_cbranch_execz .LBB23_3
; %bb.2:                                ;   in Loop: Header=BB23_1 Depth=1
	ds_load_b32 v2, v20
	s_wait_dscnt 0x0
	v_mov_b32_e32 v14, v2
.LBB23_3:                               ;   in Loop: Header=BB23_1 Depth=1
	s_or_b32 exec_lo, exec_lo, s1
	s_add_co_i32 s0, s0, -1
	s_delay_alu instid0(SALU_CYCLE_1)
	s_cmp_lg_u32 s0, 0
	s_barrier_signal -1
	s_barrier_wait -1
	s_cbranch_scc0 .LBB23_5
; %bb.4:                                ;   in Loop: Header=BB23_1 Depth=1
	v_mov_b32_e32 v13, v15
	s_branch .LBB23_1
.LBB23_5:
	v_lshl_add_u64 v[6:7], v[18:19], 2, s[2:3]
	v_dual_mov_b32 v3, v0 :: v_dual_mov_b32 v4, v16
	v_dual_mov_b32 v5, v17 :: v_dual_mov_b32 v13, v15
	s_clause 0x1
	global_store_b128 v[6:7], v[2:5], off
	global_store_b128 v[6:7], v[10:13], off offset:16
	s_endpgm
	.section	.rodata,"a",@progbits
	.p2align	6, 0x0
	.amdhsa_kernel _Z6kernelI2upfLj256ELj8ELj100EEvPKT0_PS1_
		.amdhsa_group_segment_fixed_size 1024
		.amdhsa_private_segment_fixed_size 0
		.amdhsa_kernarg_size 16
		.amdhsa_user_sgpr_count 2
		.amdhsa_user_sgpr_dispatch_ptr 0
		.amdhsa_user_sgpr_queue_ptr 0
		.amdhsa_user_sgpr_kernarg_segment_ptr 1
		.amdhsa_user_sgpr_dispatch_id 0
		.amdhsa_user_sgpr_kernarg_preload_length 0
		.amdhsa_user_sgpr_kernarg_preload_offset 0
		.amdhsa_user_sgpr_private_segment_size 0
		.amdhsa_wavefront_size32 1
		.amdhsa_uses_dynamic_stack 0
		.amdhsa_enable_private_segment 0
		.amdhsa_system_sgpr_workgroup_id_x 1
		.amdhsa_system_sgpr_workgroup_id_y 0
		.amdhsa_system_sgpr_workgroup_id_z 0
		.amdhsa_system_sgpr_workgroup_info 0
		.amdhsa_system_vgpr_workitem_id 0
		.amdhsa_next_free_vgpr 21
		.amdhsa_next_free_sgpr 7
		.amdhsa_named_barrier_count 0
		.amdhsa_reserve_vcc 1
		.amdhsa_float_round_mode_32 0
		.amdhsa_float_round_mode_16_64 0
		.amdhsa_float_denorm_mode_32 3
		.amdhsa_float_denorm_mode_16_64 3
		.amdhsa_fp16_overflow 0
		.amdhsa_memory_ordered 1
		.amdhsa_forward_progress 1
		.amdhsa_inst_pref_size 3
		.amdhsa_round_robin_scheduling 0
		.amdhsa_exception_fp_ieee_invalid_op 0
		.amdhsa_exception_fp_denorm_src 0
		.amdhsa_exception_fp_ieee_div_zero 0
		.amdhsa_exception_fp_ieee_overflow 0
		.amdhsa_exception_fp_ieee_underflow 0
		.amdhsa_exception_fp_ieee_inexact 0
		.amdhsa_exception_int_div_zero 0
	.end_amdhsa_kernel
	.section	.text._Z6kernelI2upfLj256ELj8ELj100EEvPKT0_PS1_,"axG",@progbits,_Z6kernelI2upfLj256ELj8ELj100EEvPKT0_PS1_,comdat
.Lfunc_end23:
	.size	_Z6kernelI2upfLj256ELj8ELj100EEvPKT0_PS1_, .Lfunc_end23-_Z6kernelI2upfLj256ELj8ELj100EEvPKT0_PS1_
                                        ; -- End function
	.set _Z6kernelI2upfLj256ELj8ELj100EEvPKT0_PS1_.num_vgpr, 21
	.set _Z6kernelI2upfLj256ELj8ELj100EEvPKT0_PS1_.num_agpr, 0
	.set _Z6kernelI2upfLj256ELj8ELj100EEvPKT0_PS1_.numbered_sgpr, 7
	.set _Z6kernelI2upfLj256ELj8ELj100EEvPKT0_PS1_.num_named_barrier, 0
	.set _Z6kernelI2upfLj256ELj8ELj100EEvPKT0_PS1_.private_seg_size, 0
	.set _Z6kernelI2upfLj256ELj8ELj100EEvPKT0_PS1_.uses_vcc, 1
	.set _Z6kernelI2upfLj256ELj8ELj100EEvPKT0_PS1_.uses_flat_scratch, 0
	.set _Z6kernelI2upfLj256ELj8ELj100EEvPKT0_PS1_.has_dyn_sized_stack, 0
	.set _Z6kernelI2upfLj256ELj8ELj100EEvPKT0_PS1_.has_recursion, 0
	.set _Z6kernelI2upfLj256ELj8ELj100EEvPKT0_PS1_.has_indirect_call, 0
	.section	.AMDGPU.csdata,"",@progbits
; Kernel info:
; codeLenInByte = 324
; TotalNumSgprs: 9
; NumVgprs: 21
; ScratchSize: 0
; MemoryBound: 0
; FloatMode: 240
; IeeeMode: 1
; LDSByteSize: 1024 bytes/workgroup (compile time only)
; SGPRBlocks: 0
; VGPRBlocks: 1
; NumSGPRsForWavesPerEU: 9
; NumVGPRsForWavesPerEU: 21
; NamedBarCnt: 0
; Occupancy: 16
; WaveLimiterHint : 0
; COMPUTE_PGM_RSRC2:SCRATCH_EN: 0
; COMPUTE_PGM_RSRC2:USER_SGPR: 2
; COMPUTE_PGM_RSRC2:TRAP_HANDLER: 0
; COMPUTE_PGM_RSRC2:TGID_X_EN: 1
; COMPUTE_PGM_RSRC2:TGID_Y_EN: 0
; COMPUTE_PGM_RSRC2:TGID_Z_EN: 0
; COMPUTE_PGM_RSRC2:TIDIG_COMP_CNT: 0
	.section	.text._Z6kernelI2upfLj256ELj16ELj100EEvPKT0_PS1_,"axG",@progbits,_Z6kernelI2upfLj256ELj16ELj100EEvPKT0_PS1_,comdat
	.protected	_Z6kernelI2upfLj256ELj16ELj100EEvPKT0_PS1_ ; -- Begin function _Z6kernelI2upfLj256ELj16ELj100EEvPKT0_PS1_
	.globl	_Z6kernelI2upfLj256ELj16ELj100EEvPKT0_PS1_
	.p2align	8
	.type	_Z6kernelI2upfLj256ELj16ELj100EEvPKT0_PS1_,@function
_Z6kernelI2upfLj256ELj16ELj100EEvPKT0_PS1_: ; @_Z6kernelI2upfLj256ELj16ELj100EEvPKT0_PS1_
; %bb.0:
	s_load_b128 s[0:3], s[0:1], 0x0
	s_bfe_u32 s4, ttmp6, 0x4000c
	s_and_b32 s5, ttmp6, 15
	s_add_co_i32 s4, s4, 1
	s_getreg_b32 s6, hwreg(HW_REG_IB_STS2, 6, 4)
	s_mul_i32 s4, ttmp9, s4
	v_dual_lshlrev_b32 v1, 4, v0 :: v_dual_mov_b32 v21, 0
	s_add_co_i32 s5, s5, s4
	s_cmp_eq_u32 s6, 0
	v_cmp_ne_u32_e32 vcc_lo, 0, v0
	s_cselect_b32 s4, ttmp9, s5
	s_delay_alu instid0(SALU_CYCLE_1) | instskip(SKIP_1) | instid1(VALU_DEP_1)
	v_lshl_or_b32 v20, s4, 12, v1
	s_wait_kmcnt 0x0
	v_lshl_add_u64 v[18:19], v[20:21], 2, s[0:1]
	s_movk_i32 s0, 0x64
	s_clause 0x3
	global_load_b128 v[10:13], v[18:19], off
	global_load_b128 v[2:5], v[18:19], off offset:48
	global_load_b128 v[6:9], v[18:19], off offset:32
	;; [unrolled: 1-line block ×3, first 2 shown]
	s_wait_loadcnt 0x3
	s_wait_xcnt 0x0
	v_dual_lshlrev_b32 v18, 2, v0 :: v_dual_mov_b32 v0, v11
	s_delay_alu instid0(VALU_DEP_1)
	v_add_nc_u32_e32 v34, -4, v18
.LBB24_1:                               ; =>This Inner Loop Header: Depth=1
	v_mov_b32_e32 v19, v10
	s_wait_loadcnt 0x2
	ds_store_b32 v18, v5
	s_wait_loadcnt_dscnt 0x0
	s_barrier_signal -1
	s_barrier_wait -1
	s_and_saveexec_b32 s1, vcc_lo
; %bb.2:                                ;   in Loop: Header=BB24_1 Depth=1
	ds_load_b32 v10, v34
; %bb.3:                                ;   in Loop: Header=BB24_1 Depth=1
	s_or_b32 exec_lo, exec_lo, s1
	s_add_co_i32 s0, s0, -1
	s_wait_dscnt 0x0
	s_cmp_lg_u32 s0, 0
	s_barrier_signal -1
	s_barrier_wait -1
	s_cbranch_scc0 .LBB24_5
; %bb.4:                                ;   in Loop: Header=BB24_1 Depth=1
	v_dual_mov_b32 v1, v12 :: v_dual_mov_b32 v22, v13
	v_dual_mov_b32 v23, v14 :: v_dual_mov_b32 v24, v15
	;; [unrolled: 1-line block ×6, first 2 shown]
	v_mov_b32_e32 v33, v4
	v_mov_b64_e32 v[12:13], v[0:1]
	v_mov_b64_e32 v[14:15], v[22:23]
	;; [unrolled: 1-line block ×6, first 2 shown]
	v_mov_b32_e32 v0, v19
	v_mov_b64_e32 v[4:5], v[32:33]
	s_branch .LBB24_1
.LBB24_5:
	v_lshl_add_u64 v[22:23], v[20:21], 2, s[2:3]
	v_dual_mov_b32 v18, v10 :: v_dual_mov_b32 v20, v0
	v_dual_mov_b32 v10, v12 :: v_dual_mov_b32 v11, v13
	v_dual_mov_b32 v12, v14 :: v_dual_mov_b32 v13, v15
	v_dual_mov_b32 v14, v16 :: v_dual_mov_b32 v15, v17
	v_dual_mov_b32 v16, v6 :: v_dual_mov_b32 v17, v7
	v_dual_mov_b32 v0, v8 :: v_dual_mov_b32 v1, v9
	s_clause 0x4
	global_store_b96 v[22:23], v[18:20], off
	global_store_b128 v[22:23], v[10:13], off offset:12
	global_store_b128 v[22:23], v[14:17], off offset:28
	;; [unrolled: 1-line block ×3, first 2 shown]
	global_store_b32 v[22:23], v4, off offset:60
	s_endpgm
	.section	.rodata,"a",@progbits
	.p2align	6, 0x0
	.amdhsa_kernel _Z6kernelI2upfLj256ELj16ELj100EEvPKT0_PS1_
		.amdhsa_group_segment_fixed_size 1024
		.amdhsa_private_segment_fixed_size 0
		.amdhsa_kernarg_size 16
		.amdhsa_user_sgpr_count 2
		.amdhsa_user_sgpr_dispatch_ptr 0
		.amdhsa_user_sgpr_queue_ptr 0
		.amdhsa_user_sgpr_kernarg_segment_ptr 1
		.amdhsa_user_sgpr_dispatch_id 0
		.amdhsa_user_sgpr_kernarg_preload_length 0
		.amdhsa_user_sgpr_kernarg_preload_offset 0
		.amdhsa_user_sgpr_private_segment_size 0
		.amdhsa_wavefront_size32 1
		.amdhsa_uses_dynamic_stack 0
		.amdhsa_enable_private_segment 0
		.amdhsa_system_sgpr_workgroup_id_x 1
		.amdhsa_system_sgpr_workgroup_id_y 0
		.amdhsa_system_sgpr_workgroup_id_z 0
		.amdhsa_system_sgpr_workgroup_info 0
		.amdhsa_system_vgpr_workitem_id 0
		.amdhsa_next_free_vgpr 35
		.amdhsa_next_free_sgpr 7
		.amdhsa_named_barrier_count 0
		.amdhsa_reserve_vcc 1
		.amdhsa_float_round_mode_32 0
		.amdhsa_float_round_mode_16_64 0
		.amdhsa_float_denorm_mode_32 3
		.amdhsa_float_denorm_mode_16_64 3
		.amdhsa_fp16_overflow 0
		.amdhsa_memory_ordered 1
		.amdhsa_forward_progress 1
		.amdhsa_inst_pref_size 4
		.amdhsa_round_robin_scheduling 0
		.amdhsa_exception_fp_ieee_invalid_op 0
		.amdhsa_exception_fp_denorm_src 0
		.amdhsa_exception_fp_ieee_div_zero 0
		.amdhsa_exception_fp_ieee_overflow 0
		.amdhsa_exception_fp_ieee_underflow 0
		.amdhsa_exception_fp_ieee_inexact 0
		.amdhsa_exception_int_div_zero 0
	.end_amdhsa_kernel
	.section	.text._Z6kernelI2upfLj256ELj16ELj100EEvPKT0_PS1_,"axG",@progbits,_Z6kernelI2upfLj256ELj16ELj100EEvPKT0_PS1_,comdat
.Lfunc_end24:
	.size	_Z6kernelI2upfLj256ELj16ELj100EEvPKT0_PS1_, .Lfunc_end24-_Z6kernelI2upfLj256ELj16ELj100EEvPKT0_PS1_
                                        ; -- End function
	.set _Z6kernelI2upfLj256ELj16ELj100EEvPKT0_PS1_.num_vgpr, 35
	.set _Z6kernelI2upfLj256ELj16ELj100EEvPKT0_PS1_.num_agpr, 0
	.set _Z6kernelI2upfLj256ELj16ELj100EEvPKT0_PS1_.numbered_sgpr, 7
	.set _Z6kernelI2upfLj256ELj16ELj100EEvPKT0_PS1_.num_named_barrier, 0
	.set _Z6kernelI2upfLj256ELj16ELj100EEvPKT0_PS1_.private_seg_size, 0
	.set _Z6kernelI2upfLj256ELj16ELj100EEvPKT0_PS1_.uses_vcc, 1
	.set _Z6kernelI2upfLj256ELj16ELj100EEvPKT0_PS1_.uses_flat_scratch, 0
	.set _Z6kernelI2upfLj256ELj16ELj100EEvPKT0_PS1_.has_dyn_sized_stack, 0
	.set _Z6kernelI2upfLj256ELj16ELj100EEvPKT0_PS1_.has_recursion, 0
	.set _Z6kernelI2upfLj256ELj16ELj100EEvPKT0_PS1_.has_indirect_call, 0
	.section	.AMDGPU.csdata,"",@progbits
; Kernel info:
; codeLenInByte = 452
; TotalNumSgprs: 9
; NumVgprs: 35
; ScratchSize: 0
; MemoryBound: 1
; FloatMode: 240
; IeeeMode: 1
; LDSByteSize: 1024 bytes/workgroup (compile time only)
; SGPRBlocks: 0
; VGPRBlocks: 2
; NumSGPRsForWavesPerEU: 9
; NumVGPRsForWavesPerEU: 35
; NamedBarCnt: 0
; Occupancy: 16
; WaveLimiterHint : 0
; COMPUTE_PGM_RSRC2:SCRATCH_EN: 0
; COMPUTE_PGM_RSRC2:USER_SGPR: 2
; COMPUTE_PGM_RSRC2:TRAP_HANDLER: 0
; COMPUTE_PGM_RSRC2:TGID_X_EN: 1
; COMPUTE_PGM_RSRC2:TGID_Y_EN: 0
; COMPUTE_PGM_RSRC2:TGID_Z_EN: 0
; COMPUTE_PGM_RSRC2:TIDIG_COMP_CNT: 0
	.section	.text._Z6kernelI2upfLj256ELj32ELj100EEvPKT0_PS1_,"axG",@progbits,_Z6kernelI2upfLj256ELj32ELj100EEvPKT0_PS1_,comdat
	.protected	_Z6kernelI2upfLj256ELj32ELj100EEvPKT0_PS1_ ; -- Begin function _Z6kernelI2upfLj256ELj32ELj100EEvPKT0_PS1_
	.globl	_Z6kernelI2upfLj256ELj32ELj100EEvPKT0_PS1_
	.p2align	8
	.type	_Z6kernelI2upfLj256ELj32ELj100EEvPKT0_PS1_,@function
_Z6kernelI2upfLj256ELj32ELj100EEvPKT0_PS1_: ; @_Z6kernelI2upfLj256ELj32ELj100EEvPKT0_PS1_
; %bb.0:
	s_load_b128 s[0:3], s[0:1], 0x0
	s_bfe_u32 s4, ttmp6, 0x4000c
	s_and_b32 s5, ttmp6, 15
	s_add_co_i32 s4, s4, 1
	s_getreg_b32 s6, hwreg(HW_REG_IB_STS2, 6, 4)
	s_mul_i32 s4, ttmp9, s4
	v_dual_lshlrev_b32 v1, 5, v0 :: v_dual_mov_b32 v37, 0
	s_add_co_i32 s5, s5, s4
	s_cmp_eq_u32 s6, 0
	v_cmp_ne_u32_e32 vcc_lo, 0, v0
	s_cselect_b32 s4, ttmp9, s5
	s_delay_alu instid0(SALU_CYCLE_1) | instskip(SKIP_1) | instid1(VALU_DEP_1)
	v_lshl_or_b32 v36, s4, 13, v1
	s_wait_kmcnt 0x0
	v_lshl_add_u64 v[34:35], v[36:37], 2, s[0:1]
	s_movk_i32 s0, 0x64
	s_clause 0x7
	global_load_b128 v[2:5], v[34:35], off offset:48
	global_load_b128 v[6:9], v[34:35], off offset:32
	global_load_b128 v[18:21], v[34:35], off
	global_load_b128 v[10:13], v[34:35], off offset:16
	global_load_b128 v[14:17], v[34:35], off offset:112
	;; [unrolled: 1-line block ×5, first 2 shown]
	s_wait_loadcnt 0x5
	s_wait_xcnt 0x0
	v_dual_lshlrev_b32 v34, 2, v0 :: v_dual_mov_b32 v0, v19
.LBB25_1:                               ; =>This Inner Loop Header: Depth=1
	v_mov_b32_e32 v35, v18
	s_wait_loadcnt 0x3
	ds_store_b32 v34, v17
	s_wait_loadcnt_dscnt 0x0
	s_barrier_signal -1
	s_barrier_wait -1
	s_and_saveexec_b32 s1, vcc_lo
; %bb.2:                                ;   in Loop: Header=BB25_1 Depth=1
	v_add_nc_u32_e32 v1, -4, v34
	ds_load_b32 v18, v1
; %bb.3:                                ;   in Loop: Header=BB25_1 Depth=1
	s_or_b32 exec_lo, exec_lo, s1
	s_add_co_i32 s0, s0, -1
	s_wait_dscnt 0x0
	s_cmp_lg_u32 s0, 0
	s_barrier_signal -1
	s_barrier_wait -1
	s_cbranch_scc0 .LBB25_5
; %bb.4:                                ;   in Loop: Header=BB25_1 Depth=1
	v_dual_mov_b32 v38, v21 :: v_dual_mov_b32 v39, v10
	v_dual_mov_b32 v40, v11 :: v_dual_mov_b32 v41, v12
	;; [unrolled: 1-line block ×14, first 2 shown]
	v_mov_b32_e32 v1, v20
	v_mov_b64_e32 v[10:11], v[38:39]
	v_mov_b64_e32 v[12:13], v[40:41]
	;; [unrolled: 1-line block ×15, first 2 shown]
	v_mov_b32_e32 v0, v35
	s_branch .LBB25_1
.LBB25_5:
	v_lshl_add_u64 v[38:39], v[36:37], 2, s[2:3]
	v_dual_mov_b32 v34, v18 :: v_dual_mov_b32 v36, v0
	v_dual_mov_b32 v18, v20 :: v_dual_mov_b32 v19, v21
	;; [unrolled: 1-line block ×7, first 2 shown]
	s_clause 0x1
	global_store_b96 v[38:39], v[34:36], off
	global_store_b128 v[38:39], v[18:21], off offset:12
	s_wait_xcnt 0x0
	v_dual_mov_b32 v18, v32 :: v_dual_mov_b32 v19, v33
	v_dual_mov_b32 v20, v26 :: v_dual_mov_b32 v21, v27
	;; [unrolled: 1-line block ×6, first 2 shown]
	s_clause 0x6
	global_store_b128 v[38:39], v[10:13], off offset:28
	global_store_b128 v[38:39], v[0:3], off offset:44
	;; [unrolled: 1-line block ×6, first 2 shown]
	global_store_b32 v[38:39], v16, off offset:124
	s_sendmsg sendmsg(MSG_DEALLOC_VGPRS)
	s_endpgm
	.section	.rodata,"a",@progbits
	.p2align	6, 0x0
	.amdhsa_kernel _Z6kernelI2upfLj256ELj32ELj100EEvPKT0_PS1_
		.amdhsa_group_segment_fixed_size 1024
		.amdhsa_private_segment_fixed_size 0
		.amdhsa_kernarg_size 16
		.amdhsa_user_sgpr_count 2
		.amdhsa_user_sgpr_dispatch_ptr 0
		.amdhsa_user_sgpr_queue_ptr 0
		.amdhsa_user_sgpr_kernarg_segment_ptr 1
		.amdhsa_user_sgpr_dispatch_id 0
		.amdhsa_user_sgpr_kernarg_preload_length 0
		.amdhsa_user_sgpr_kernarg_preload_offset 0
		.amdhsa_user_sgpr_private_segment_size 0
		.amdhsa_wavefront_size32 1
		.amdhsa_uses_dynamic_stack 0
		.amdhsa_enable_private_segment 0
		.amdhsa_system_sgpr_workgroup_id_x 1
		.amdhsa_system_sgpr_workgroup_id_y 0
		.amdhsa_system_sgpr_workgroup_id_z 0
		.amdhsa_system_sgpr_workgroup_info 0
		.amdhsa_system_vgpr_workitem_id 0
		.amdhsa_next_free_vgpr 66
		.amdhsa_next_free_sgpr 7
		.amdhsa_named_barrier_count 0
		.amdhsa_reserve_vcc 1
		.amdhsa_float_round_mode_32 0
		.amdhsa_float_round_mode_16_64 0
		.amdhsa_float_denorm_mode_32 3
		.amdhsa_float_denorm_mode_16_64 3
		.amdhsa_fp16_overflow 0
		.amdhsa_memory_ordered 1
		.amdhsa_forward_progress 1
		.amdhsa_inst_pref_size 6
		.amdhsa_round_robin_scheduling 0
		.amdhsa_exception_fp_ieee_invalid_op 0
		.amdhsa_exception_fp_denorm_src 0
		.amdhsa_exception_fp_ieee_div_zero 0
		.amdhsa_exception_fp_ieee_overflow 0
		.amdhsa_exception_fp_ieee_underflow 0
		.amdhsa_exception_fp_ieee_inexact 0
		.amdhsa_exception_int_div_zero 0
	.end_amdhsa_kernel
	.section	.text._Z6kernelI2upfLj256ELj32ELj100EEvPKT0_PS1_,"axG",@progbits,_Z6kernelI2upfLj256ELj32ELj100EEvPKT0_PS1_,comdat
.Lfunc_end25:
	.size	_Z6kernelI2upfLj256ELj32ELj100EEvPKT0_PS1_, .Lfunc_end25-_Z6kernelI2upfLj256ELj32ELj100EEvPKT0_PS1_
                                        ; -- End function
	.set _Z6kernelI2upfLj256ELj32ELj100EEvPKT0_PS1_.num_vgpr, 66
	.set _Z6kernelI2upfLj256ELj32ELj100EEvPKT0_PS1_.num_agpr, 0
	.set _Z6kernelI2upfLj256ELj32ELj100EEvPKT0_PS1_.numbered_sgpr, 7
	.set _Z6kernelI2upfLj256ELj32ELj100EEvPKT0_PS1_.num_named_barrier, 0
	.set _Z6kernelI2upfLj256ELj32ELj100EEvPKT0_PS1_.private_seg_size, 0
	.set _Z6kernelI2upfLj256ELj32ELj100EEvPKT0_PS1_.uses_vcc, 1
	.set _Z6kernelI2upfLj256ELj32ELj100EEvPKT0_PS1_.uses_flat_scratch, 0
	.set _Z6kernelI2upfLj256ELj32ELj100EEvPKT0_PS1_.has_dyn_sized_stack, 0
	.set _Z6kernelI2upfLj256ELj32ELj100EEvPKT0_PS1_.has_recursion, 0
	.set _Z6kernelI2upfLj256ELj32ELj100EEvPKT0_PS1_.has_indirect_call, 0
	.section	.AMDGPU.csdata,"",@progbits
; Kernel info:
; codeLenInByte = 708
; TotalNumSgprs: 9
; NumVgprs: 66
; ScratchSize: 0
; MemoryBound: 1
; FloatMode: 240
; IeeeMode: 1
; LDSByteSize: 1024 bytes/workgroup (compile time only)
; SGPRBlocks: 0
; VGPRBlocks: 4
; NumSGPRsForWavesPerEU: 9
; NumVGPRsForWavesPerEU: 66
; NamedBarCnt: 0
; Occupancy: 12
; WaveLimiterHint : 0
; COMPUTE_PGM_RSRC2:SCRATCH_EN: 0
; COMPUTE_PGM_RSRC2:USER_SGPR: 2
; COMPUTE_PGM_RSRC2:TRAP_HANDLER: 0
; COMPUTE_PGM_RSRC2:TGID_X_EN: 1
; COMPUTE_PGM_RSRC2:TGID_Y_EN: 0
; COMPUTE_PGM_RSRC2:TGID_Z_EN: 0
; COMPUTE_PGM_RSRC2:TIDIG_COMP_CNT: 0
	.section	.text._Z6kernelI2updLj256ELj1ELj100EEvPKT0_PS1_,"axG",@progbits,_Z6kernelI2updLj256ELj1ELj100EEvPKT0_PS1_,comdat
	.protected	_Z6kernelI2updLj256ELj1ELj100EEvPKT0_PS1_ ; -- Begin function _Z6kernelI2updLj256ELj1ELj100EEvPKT0_PS1_
	.globl	_Z6kernelI2updLj256ELj1ELj100EEvPKT0_PS1_
	.p2align	8
	.type	_Z6kernelI2updLj256ELj1ELj100EEvPKT0_PS1_,@function
_Z6kernelI2updLj256ELj1ELj100EEvPKT0_PS1_: ; @_Z6kernelI2updLj256ELj1ELj100EEvPKT0_PS1_
; %bb.0:
	s_load_b128 s[0:3], s[0:1], 0x0
	s_bfe_u32 s4, ttmp6, 0x4000c
	s_and_b32 s5, ttmp6, 15
	s_add_co_i32 s4, s4, 1
	s_getreg_b32 s6, hwreg(HW_REG_IB_STS2, 6, 4)
	s_mul_i32 s4, ttmp9, s4
	v_dual_lshlrev_b32 v1, 3, v0 :: v_dual_mov_b32 v3, 0
	s_add_co_i32 s5, s5, s4
	s_cmp_eq_u32 s6, 0
	v_cmp_ne_u32_e32 vcc_lo, 0, v0
	s_cselect_b32 s4, ttmp9, s5
	s_delay_alu instid0(SALU_CYCLE_1)
	v_lshl_or_b32 v2, s4, 8, v0
	v_add_nc_u32_e32 v0, -8, v1
	s_wait_kmcnt 0x0
	global_load_b64 v[4:5], v2, s[0:1] scale_offset
	s_wait_xcnt 0x0
	s_movk_i32 s0, 0x64
	s_branch .LBB26_2
.LBB26_1:                               ;   in Loop: Header=BB26_2 Depth=1
	s_or_b32 exec_lo, exec_lo, s1
	s_add_co_i32 s0, s0, -1
	s_wait_dscnt 0x0
	s_cmp_lg_u32 s0, 0
	s_barrier_signal -1
	s_barrier_wait -1
	s_cbranch_scc0 .LBB26_4
.LBB26_2:                               ; =>This Inner Loop Header: Depth=1
	s_wait_loadcnt 0x0
	ds_store_b64 v1, v[4:5]
	s_wait_dscnt 0x0
	s_barrier_signal -1
	s_barrier_wait -1
	s_and_saveexec_b32 s1, vcc_lo
	s_cbranch_execz .LBB26_1
; %bb.3:                                ;   in Loop: Header=BB26_2 Depth=1
	ds_load_b64 v[4:5], v0
	s_branch .LBB26_1
.LBB26_4:
	v_lshl_add_u64 v[0:1], v[2:3], 3, s[2:3]
	global_store_b64 v[0:1], v[4:5], off
	s_endpgm
	.section	.rodata,"a",@progbits
	.p2align	6, 0x0
	.amdhsa_kernel _Z6kernelI2updLj256ELj1ELj100EEvPKT0_PS1_
		.amdhsa_group_segment_fixed_size 2048
		.amdhsa_private_segment_fixed_size 0
		.amdhsa_kernarg_size 16
		.amdhsa_user_sgpr_count 2
		.amdhsa_user_sgpr_dispatch_ptr 0
		.amdhsa_user_sgpr_queue_ptr 0
		.amdhsa_user_sgpr_kernarg_segment_ptr 1
		.amdhsa_user_sgpr_dispatch_id 0
		.amdhsa_user_sgpr_kernarg_preload_length 0
		.amdhsa_user_sgpr_kernarg_preload_offset 0
		.amdhsa_user_sgpr_private_segment_size 0
		.amdhsa_wavefront_size32 1
		.amdhsa_uses_dynamic_stack 0
		.amdhsa_enable_private_segment 0
		.amdhsa_system_sgpr_workgroup_id_x 1
		.amdhsa_system_sgpr_workgroup_id_y 0
		.amdhsa_system_sgpr_workgroup_id_z 0
		.amdhsa_system_sgpr_workgroup_info 0
		.amdhsa_system_vgpr_workitem_id 0
		.amdhsa_next_free_vgpr 6
		.amdhsa_next_free_sgpr 7
		.amdhsa_named_barrier_count 0
		.amdhsa_reserve_vcc 1
		.amdhsa_float_round_mode_32 0
		.amdhsa_float_round_mode_16_64 0
		.amdhsa_float_denorm_mode_32 3
		.amdhsa_float_denorm_mode_16_64 3
		.amdhsa_fp16_overflow 0
		.amdhsa_memory_ordered 1
		.amdhsa_forward_progress 1
		.amdhsa_inst_pref_size 2
		.amdhsa_round_robin_scheduling 0
		.amdhsa_exception_fp_ieee_invalid_op 0
		.amdhsa_exception_fp_denorm_src 0
		.amdhsa_exception_fp_ieee_div_zero 0
		.amdhsa_exception_fp_ieee_overflow 0
		.amdhsa_exception_fp_ieee_underflow 0
		.amdhsa_exception_fp_ieee_inexact 0
		.amdhsa_exception_int_div_zero 0
	.end_amdhsa_kernel
	.section	.text._Z6kernelI2updLj256ELj1ELj100EEvPKT0_PS1_,"axG",@progbits,_Z6kernelI2updLj256ELj1ELj100EEvPKT0_PS1_,comdat
.Lfunc_end26:
	.size	_Z6kernelI2updLj256ELj1ELj100EEvPKT0_PS1_, .Lfunc_end26-_Z6kernelI2updLj256ELj1ELj100EEvPKT0_PS1_
                                        ; -- End function
	.set _Z6kernelI2updLj256ELj1ELj100EEvPKT0_PS1_.num_vgpr, 6
	.set _Z6kernelI2updLj256ELj1ELj100EEvPKT0_PS1_.num_agpr, 0
	.set _Z6kernelI2updLj256ELj1ELj100EEvPKT0_PS1_.numbered_sgpr, 7
	.set _Z6kernelI2updLj256ELj1ELj100EEvPKT0_PS1_.num_named_barrier, 0
	.set _Z6kernelI2updLj256ELj1ELj100EEvPKT0_PS1_.private_seg_size, 0
	.set _Z6kernelI2updLj256ELj1ELj100EEvPKT0_PS1_.uses_vcc, 1
	.set _Z6kernelI2updLj256ELj1ELj100EEvPKT0_PS1_.uses_flat_scratch, 0
	.set _Z6kernelI2updLj256ELj1ELj100EEvPKT0_PS1_.has_dyn_sized_stack, 0
	.set _Z6kernelI2updLj256ELj1ELj100EEvPKT0_PS1_.has_recursion, 0
	.set _Z6kernelI2updLj256ELj1ELj100EEvPKT0_PS1_.has_indirect_call, 0
	.section	.AMDGPU.csdata,"",@progbits
; Kernel info:
; codeLenInByte = 200
; TotalNumSgprs: 9
; NumVgprs: 6
; ScratchSize: 0
; MemoryBound: 0
; FloatMode: 240
; IeeeMode: 1
; LDSByteSize: 2048 bytes/workgroup (compile time only)
; SGPRBlocks: 0
; VGPRBlocks: 0
; NumSGPRsForWavesPerEU: 9
; NumVGPRsForWavesPerEU: 6
; NamedBarCnt: 0
; Occupancy: 16
; WaveLimiterHint : 0
; COMPUTE_PGM_RSRC2:SCRATCH_EN: 0
; COMPUTE_PGM_RSRC2:USER_SGPR: 2
; COMPUTE_PGM_RSRC2:TRAP_HANDLER: 0
; COMPUTE_PGM_RSRC2:TGID_X_EN: 1
; COMPUTE_PGM_RSRC2:TGID_Y_EN: 0
; COMPUTE_PGM_RSRC2:TGID_Z_EN: 0
; COMPUTE_PGM_RSRC2:TIDIG_COMP_CNT: 0
	.section	.text._Z6kernelI2updLj256ELj3ELj100EEvPKT0_PS1_,"axG",@progbits,_Z6kernelI2updLj256ELj3ELj100EEvPKT0_PS1_,comdat
	.protected	_Z6kernelI2updLj256ELj3ELj100EEvPKT0_PS1_ ; -- Begin function _Z6kernelI2updLj256ELj3ELj100EEvPKT0_PS1_
	.globl	_Z6kernelI2updLj256ELj3ELj100EEvPKT0_PS1_
	.p2align	8
	.type	_Z6kernelI2updLj256ELj3ELj100EEvPKT0_PS1_,@function
_Z6kernelI2updLj256ELj3ELj100EEvPKT0_PS1_: ; @_Z6kernelI2updLj256ELj3ELj100EEvPKT0_PS1_
; %bb.0:
	s_bfe_u32 s4, ttmp6, 0x4000c
	s_and_b32 s5, ttmp6, 15
	s_add_co_i32 s4, s4, 1
	s_load_b128 s[0:3], s[0:1], 0x0
	s_mul_i32 s4, ttmp9, s4
	s_getreg_b32 s6, hwreg(HW_REG_IB_STS2, 6, 4)
	s_add_co_i32 s5, s5, s4
	s_cmp_eq_u32 s6, 0
	v_dual_mov_b32 v3, 0 :: v_dual_lshlrev_b32 v14, 3, v0
	s_cselect_b32 s4, ttmp9, s5
	v_cmp_ne_u32_e32 vcc_lo, 0, v0
	v_lshl_or_b32 v1, s4, 8, v0
	s_delay_alu instid0(VALU_DEP_3) | instskip(SKIP_1) | instid1(VALU_DEP_3)
	v_dual_mov_b32 v5, v3 :: v_dual_mov_b32 v7, v3
	v_add_nc_u32_e32 v15, -8, v14
	v_lshl_add_u32 v2, v1, 1, v1
	s_delay_alu instid0(VALU_DEP_1)
	v_dual_add_nc_u32 v4, 1, v2 :: v_dual_add_nc_u32 v6, 2, v2
	s_wait_kmcnt 0x0
	s_clause 0x2
	global_load_b64 v[10:11], v2, s[0:1] scale_offset
	global_load_b64 v[8:9], v4, s[0:1] scale_offset
	;; [unrolled: 1-line block ×3, first 2 shown]
	s_wait_xcnt 0x0
	s_movk_i32 s0, 0x64
.LBB27_1:                               ; =>This Inner Loop Header: Depth=1
	s_wait_loadcnt 0x1
	v_mov_b64_e32 v[0:1], v[8:9]
	v_mov_b64_e32 v[8:9], v[10:11]
	s_wait_loadcnt 0x0
	ds_store_b64 v14, v[12:13]
	s_wait_dscnt 0x0
	s_barrier_signal -1
	s_barrier_wait -1
	s_and_saveexec_b32 s1, vcc_lo
; %bb.2:                                ;   in Loop: Header=BB27_1 Depth=1
	ds_load_b64 v[10:11], v15
; %bb.3:                                ;   in Loop: Header=BB27_1 Depth=1
	s_or_b32 exec_lo, exec_lo, s1
	s_add_co_i32 s0, s0, -1
	s_wait_dscnt 0x0
	s_cmp_lg_u32 s0, 0
	s_barrier_signal -1
	s_barrier_wait -1
	s_cbranch_scc0 .LBB27_5
; %bb.4:                                ;   in Loop: Header=BB27_1 Depth=1
	v_mov_b64_e32 v[12:13], v[0:1]
	s_branch .LBB27_1
.LBB27_5:
	v_lshl_add_u64 v[2:3], v[2:3], 3, s[2:3]
	v_lshl_add_u64 v[4:5], v[4:5], 3, s[2:3]
	;; [unrolled: 1-line block ×3, first 2 shown]
	s_clause 0x2
	global_store_b64 v[2:3], v[10:11], off
	global_store_b64 v[4:5], v[8:9], off
	;; [unrolled: 1-line block ×3, first 2 shown]
	s_endpgm
	.section	.rodata,"a",@progbits
	.p2align	6, 0x0
	.amdhsa_kernel _Z6kernelI2updLj256ELj3ELj100EEvPKT0_PS1_
		.amdhsa_group_segment_fixed_size 2048
		.amdhsa_private_segment_fixed_size 0
		.amdhsa_kernarg_size 16
		.amdhsa_user_sgpr_count 2
		.amdhsa_user_sgpr_dispatch_ptr 0
		.amdhsa_user_sgpr_queue_ptr 0
		.amdhsa_user_sgpr_kernarg_segment_ptr 1
		.amdhsa_user_sgpr_dispatch_id 0
		.amdhsa_user_sgpr_kernarg_preload_length 0
		.amdhsa_user_sgpr_kernarg_preload_offset 0
		.amdhsa_user_sgpr_private_segment_size 0
		.amdhsa_wavefront_size32 1
		.amdhsa_uses_dynamic_stack 0
		.amdhsa_enable_private_segment 0
		.amdhsa_system_sgpr_workgroup_id_x 1
		.amdhsa_system_sgpr_workgroup_id_y 0
		.amdhsa_system_sgpr_workgroup_id_z 0
		.amdhsa_system_sgpr_workgroup_info 0
		.amdhsa_system_vgpr_workitem_id 0
		.amdhsa_next_free_vgpr 16
		.amdhsa_next_free_sgpr 7
		.amdhsa_named_barrier_count 0
		.amdhsa_reserve_vcc 1
		.amdhsa_float_round_mode_32 0
		.amdhsa_float_round_mode_16_64 0
		.amdhsa_float_denorm_mode_32 3
		.amdhsa_float_denorm_mode_16_64 3
		.amdhsa_fp16_overflow 0
		.amdhsa_memory_ordered 1
		.amdhsa_forward_progress 1
		.amdhsa_inst_pref_size 3
		.amdhsa_round_robin_scheduling 0
		.amdhsa_exception_fp_ieee_invalid_op 0
		.amdhsa_exception_fp_denorm_src 0
		.amdhsa_exception_fp_ieee_div_zero 0
		.amdhsa_exception_fp_ieee_overflow 0
		.amdhsa_exception_fp_ieee_underflow 0
		.amdhsa_exception_fp_ieee_inexact 0
		.amdhsa_exception_int_div_zero 0
	.end_amdhsa_kernel
	.section	.text._Z6kernelI2updLj256ELj3ELj100EEvPKT0_PS1_,"axG",@progbits,_Z6kernelI2updLj256ELj3ELj100EEvPKT0_PS1_,comdat
.Lfunc_end27:
	.size	_Z6kernelI2updLj256ELj3ELj100EEvPKT0_PS1_, .Lfunc_end27-_Z6kernelI2updLj256ELj3ELj100EEvPKT0_PS1_
                                        ; -- End function
	.set _Z6kernelI2updLj256ELj3ELj100EEvPKT0_PS1_.num_vgpr, 16
	.set _Z6kernelI2updLj256ELj3ELj100EEvPKT0_PS1_.num_agpr, 0
	.set _Z6kernelI2updLj256ELj3ELj100EEvPKT0_PS1_.numbered_sgpr, 7
	.set _Z6kernelI2updLj256ELj3ELj100EEvPKT0_PS1_.num_named_barrier, 0
	.set _Z6kernelI2updLj256ELj3ELj100EEvPKT0_PS1_.private_seg_size, 0
	.set _Z6kernelI2updLj256ELj3ELj100EEvPKT0_PS1_.uses_vcc, 1
	.set _Z6kernelI2updLj256ELj3ELj100EEvPKT0_PS1_.uses_flat_scratch, 0
	.set _Z6kernelI2updLj256ELj3ELj100EEvPKT0_PS1_.has_dyn_sized_stack, 0
	.set _Z6kernelI2updLj256ELj3ELj100EEvPKT0_PS1_.has_recursion, 0
	.set _Z6kernelI2updLj256ELj3ELj100EEvPKT0_PS1_.has_indirect_call, 0
	.section	.AMDGPU.csdata,"",@progbits
; Kernel info:
; codeLenInByte = 312
; TotalNumSgprs: 9
; NumVgprs: 16
; ScratchSize: 0
; MemoryBound: 0
; FloatMode: 240
; IeeeMode: 1
; LDSByteSize: 2048 bytes/workgroup (compile time only)
; SGPRBlocks: 0
; VGPRBlocks: 0
; NumSGPRsForWavesPerEU: 9
; NumVGPRsForWavesPerEU: 16
; NamedBarCnt: 0
; Occupancy: 16
; WaveLimiterHint : 0
; COMPUTE_PGM_RSRC2:SCRATCH_EN: 0
; COMPUTE_PGM_RSRC2:USER_SGPR: 2
; COMPUTE_PGM_RSRC2:TRAP_HANDLER: 0
; COMPUTE_PGM_RSRC2:TGID_X_EN: 1
; COMPUTE_PGM_RSRC2:TGID_Y_EN: 0
; COMPUTE_PGM_RSRC2:TGID_Z_EN: 0
; COMPUTE_PGM_RSRC2:TIDIG_COMP_CNT: 0
	.section	.text._Z6kernelI2updLj256ELj4ELj100EEvPKT0_PS1_,"axG",@progbits,_Z6kernelI2updLj256ELj4ELj100EEvPKT0_PS1_,comdat
	.protected	_Z6kernelI2updLj256ELj4ELj100EEvPKT0_PS1_ ; -- Begin function _Z6kernelI2updLj256ELj4ELj100EEvPKT0_PS1_
	.globl	_Z6kernelI2updLj256ELj4ELj100EEvPKT0_PS1_
	.p2align	8
	.type	_Z6kernelI2updLj256ELj4ELj100EEvPKT0_PS1_,@function
_Z6kernelI2updLj256ELj4ELj100EEvPKT0_PS1_: ; @_Z6kernelI2updLj256ELj4ELj100EEvPKT0_PS1_
; %bb.0:
	s_load_b128 s[0:3], s[0:1], 0x0
	s_bfe_u32 s4, ttmp6, 0x4000c
	s_and_b32 s5, ttmp6, 15
	s_add_co_i32 s4, s4, 1
	s_getreg_b32 s6, hwreg(HW_REG_IB_STS2, 6, 4)
	s_mul_i32 s4, ttmp9, s4
	v_dual_lshlrev_b32 v1, 2, v0 :: v_dual_mov_b32 v11, 0
	s_add_co_i32 s5, s5, s4
	s_cmp_eq_u32 s6, 0
	v_cmp_ne_u32_e32 vcc_lo, 0, v0
	s_cselect_b32 s4, ttmp9, s5
	s_delay_alu instid0(SALU_CYCLE_1) | instskip(SKIP_1) | instid1(VALU_DEP_1)
	v_lshl_or_b32 v10, s4, 10, v1
	s_wait_kmcnt 0x0
	v_lshl_add_u64 v[12:13], v[10:11], 3, s[0:1]
	s_movk_i32 s0, 0x64
	s_clause 0x1
	global_load_b128 v[2:5], v[12:13], off offset:16
	global_load_b128 v[6:9], v[12:13], off
	s_wait_xcnt 0x0
	v_lshlrev_b32_e32 v12, 3, v0
	s_delay_alu instid0(VALU_DEP_1)
	v_add_nc_u32_e32 v13, -8, v12
.LBB28_1:                               ; =>This Inner Loop Header: Depth=1
	s_wait_loadcnt 0x1
	v_mov_b64_e32 v[0:1], v[2:3]
	s_wait_loadcnt 0x0
	v_mov_b64_e32 v[2:3], v[8:9]
	v_mov_b64_e32 v[8:9], v[6:7]
	ds_store_b64 v12, v[4:5]
	s_wait_dscnt 0x0
	s_barrier_signal -1
	s_barrier_wait -1
	s_and_saveexec_b32 s1, vcc_lo
; %bb.2:                                ;   in Loop: Header=BB28_1 Depth=1
	ds_load_b64 v[6:7], v13
; %bb.3:                                ;   in Loop: Header=BB28_1 Depth=1
	s_or_b32 exec_lo, exec_lo, s1
	s_add_co_i32 s0, s0, -1
	s_wait_dscnt 0x0
	s_cmp_lg_u32 s0, 0
	s_barrier_signal -1
	s_barrier_wait -1
	s_cbranch_scc0 .LBB28_5
; %bb.4:                                ;   in Loop: Header=BB28_1 Depth=1
	v_mov_b64_e32 v[4:5], v[0:1]
	s_branch .LBB28_1
.LBB28_5:
	v_lshl_add_u64 v[10:11], v[10:11], 3, s[2:3]
	v_dual_mov_b32 v4, v0 :: v_dual_mov_b32 v5, v1
	s_clause 0x1
	global_store_b128 v[10:11], v[6:9], off
	global_store_b128 v[10:11], v[2:5], off offset:16
	s_endpgm
	.section	.rodata,"a",@progbits
	.p2align	6, 0x0
	.amdhsa_kernel _Z6kernelI2updLj256ELj4ELj100EEvPKT0_PS1_
		.amdhsa_group_segment_fixed_size 2048
		.amdhsa_private_segment_fixed_size 0
		.amdhsa_kernarg_size 16
		.amdhsa_user_sgpr_count 2
		.amdhsa_user_sgpr_dispatch_ptr 0
		.amdhsa_user_sgpr_queue_ptr 0
		.amdhsa_user_sgpr_kernarg_segment_ptr 1
		.amdhsa_user_sgpr_dispatch_id 0
		.amdhsa_user_sgpr_kernarg_preload_length 0
		.amdhsa_user_sgpr_kernarg_preload_offset 0
		.amdhsa_user_sgpr_private_segment_size 0
		.amdhsa_wavefront_size32 1
		.amdhsa_uses_dynamic_stack 0
		.amdhsa_enable_private_segment 0
		.amdhsa_system_sgpr_workgroup_id_x 1
		.amdhsa_system_sgpr_workgroup_id_y 0
		.amdhsa_system_sgpr_workgroup_id_z 0
		.amdhsa_system_sgpr_workgroup_info 0
		.amdhsa_system_vgpr_workitem_id 0
		.amdhsa_next_free_vgpr 14
		.amdhsa_next_free_sgpr 7
		.amdhsa_named_barrier_count 0
		.amdhsa_reserve_vcc 1
		.amdhsa_float_round_mode_32 0
		.amdhsa_float_round_mode_16_64 0
		.amdhsa_float_denorm_mode_32 3
		.amdhsa_float_denorm_mode_16_64 3
		.amdhsa_fp16_overflow 0
		.amdhsa_memory_ordered 1
		.amdhsa_forward_progress 1
		.amdhsa_inst_pref_size 3
		.amdhsa_round_robin_scheduling 0
		.amdhsa_exception_fp_ieee_invalid_op 0
		.amdhsa_exception_fp_denorm_src 0
		.amdhsa_exception_fp_ieee_div_zero 0
		.amdhsa_exception_fp_ieee_overflow 0
		.amdhsa_exception_fp_ieee_underflow 0
		.amdhsa_exception_fp_ieee_inexact 0
		.amdhsa_exception_int_div_zero 0
	.end_amdhsa_kernel
	.section	.text._Z6kernelI2updLj256ELj4ELj100EEvPKT0_PS1_,"axG",@progbits,_Z6kernelI2updLj256ELj4ELj100EEvPKT0_PS1_,comdat
.Lfunc_end28:
	.size	_Z6kernelI2updLj256ELj4ELj100EEvPKT0_PS1_, .Lfunc_end28-_Z6kernelI2updLj256ELj4ELj100EEvPKT0_PS1_
                                        ; -- End function
	.set _Z6kernelI2updLj256ELj4ELj100EEvPKT0_PS1_.num_vgpr, 14
	.set _Z6kernelI2updLj256ELj4ELj100EEvPKT0_PS1_.num_agpr, 0
	.set _Z6kernelI2updLj256ELj4ELj100EEvPKT0_PS1_.numbered_sgpr, 7
	.set _Z6kernelI2updLj256ELj4ELj100EEvPKT0_PS1_.num_named_barrier, 0
	.set _Z6kernelI2updLj256ELj4ELj100EEvPKT0_PS1_.private_seg_size, 0
	.set _Z6kernelI2updLj256ELj4ELj100EEvPKT0_PS1_.uses_vcc, 1
	.set _Z6kernelI2updLj256ELj4ELj100EEvPKT0_PS1_.uses_flat_scratch, 0
	.set _Z6kernelI2updLj256ELj4ELj100EEvPKT0_PS1_.has_dyn_sized_stack, 0
	.set _Z6kernelI2updLj256ELj4ELj100EEvPKT0_PS1_.has_recursion, 0
	.set _Z6kernelI2updLj256ELj4ELj100EEvPKT0_PS1_.has_indirect_call, 0
	.section	.AMDGPU.csdata,"",@progbits
; Kernel info:
; codeLenInByte = 268
; TotalNumSgprs: 9
; NumVgprs: 14
; ScratchSize: 0
; MemoryBound: 0
; FloatMode: 240
; IeeeMode: 1
; LDSByteSize: 2048 bytes/workgroup (compile time only)
; SGPRBlocks: 0
; VGPRBlocks: 0
; NumSGPRsForWavesPerEU: 9
; NumVGPRsForWavesPerEU: 14
; NamedBarCnt: 0
; Occupancy: 16
; WaveLimiterHint : 0
; COMPUTE_PGM_RSRC2:SCRATCH_EN: 0
; COMPUTE_PGM_RSRC2:USER_SGPR: 2
; COMPUTE_PGM_RSRC2:TRAP_HANDLER: 0
; COMPUTE_PGM_RSRC2:TGID_X_EN: 1
; COMPUTE_PGM_RSRC2:TGID_Y_EN: 0
; COMPUTE_PGM_RSRC2:TGID_Z_EN: 0
; COMPUTE_PGM_RSRC2:TIDIG_COMP_CNT: 0
	.section	.text._Z6kernelI2updLj256ELj8ELj100EEvPKT0_PS1_,"axG",@progbits,_Z6kernelI2updLj256ELj8ELj100EEvPKT0_PS1_,comdat
	.protected	_Z6kernelI2updLj256ELj8ELj100EEvPKT0_PS1_ ; -- Begin function _Z6kernelI2updLj256ELj8ELj100EEvPKT0_PS1_
	.globl	_Z6kernelI2updLj256ELj8ELj100EEvPKT0_PS1_
	.p2align	8
	.type	_Z6kernelI2updLj256ELj8ELj100EEvPKT0_PS1_,@function
_Z6kernelI2updLj256ELj8ELj100EEvPKT0_PS1_: ; @_Z6kernelI2updLj256ELj8ELj100EEvPKT0_PS1_
; %bb.0:
	s_load_b128 s[0:3], s[0:1], 0x0
	s_bfe_u32 s4, ttmp6, 0x4000c
	s_and_b32 s5, ttmp6, 15
	s_add_co_i32 s4, s4, 1
	s_getreg_b32 s6, hwreg(HW_REG_IB_STS2, 6, 4)
	s_mul_i32 s4, ttmp9, s4
	v_dual_lshlrev_b32 v1, 3, v0 :: v_dual_mov_b32 v21, 0
	s_add_co_i32 s5, s5, s4
	s_cmp_eq_u32 s6, 0
	v_cmp_ne_u32_e32 vcc_lo, 0, v0
	s_cselect_b32 s4, ttmp9, s5
	v_add_nc_u32_e32 v0, -8, v1
	v_lshl_or_b32 v20, s4, 11, v1
	s_wait_kmcnt 0x0
	s_delay_alu instid0(VALU_DEP_1)
	v_lshl_add_u64 v[18:19], v[20:21], 3, s[0:1]
	s_movk_i32 s0, 0x64
	s_clause 0x3
	global_load_b128 v[2:5], v[18:19], off offset:48
	global_load_b128 v[6:9], v[18:19], off offset:32
	;; [unrolled: 1-line block ×3, first 2 shown]
	global_load_b128 v[14:17], v[18:19], off
.LBB29_1:                               ; =>This Inner Loop Header: Depth=1
	s_wait_loadcnt 0x0
	s_delay_alu instid0(VALU_DEP_1)
	v_mov_b64_e32 v[18:19], v[14:15]
	ds_store_b64 v1, v[4:5]
	s_wait_dscnt 0x0
	s_barrier_signal -1
	s_barrier_wait -1
	s_and_saveexec_b32 s1, vcc_lo
; %bb.2:                                ;   in Loop: Header=BB29_1 Depth=1
	ds_load_b64 v[18:19], v0
; %bb.3:                                ;   in Loop: Header=BB29_1 Depth=1
	s_or_b32 exec_lo, exec_lo, s1
	s_add_co_i32 s0, s0, -1
	s_wait_dscnt 0x0
	s_cmp_lg_u32 s0, 0
	s_barrier_signal -1
	s_barrier_wait -1
	s_cbranch_scc0 .LBB29_5
; %bb.4:                                ;   in Loop: Header=BB29_1 Depth=1
	v_mov_b64_e32 v[4:5], v[2:3]
	v_mov_b64_e32 v[2:3], v[8:9]
	v_mov_b64_e32 v[8:9], v[6:7]
	v_mov_b64_e32 v[6:7], v[12:13]
	v_mov_b64_e32 v[12:13], v[10:11]
	v_mov_b64_e32 v[10:11], v[16:17]
	v_mov_b64_e32 v[16:17], v[14:15]
	v_mov_b64_e32 v[14:15], v[18:19]
	s_branch .LBB29_1
.LBB29_5:
	v_lshl_add_u64 v[22:23], v[20:21], 3, s[2:3]
	v_dual_mov_b32 v20, v14 :: v_dual_mov_b32 v21, v15
	v_dual_mov_b32 v14, v16 :: v_dual_mov_b32 v15, v17
	;; [unrolled: 1-line block ×5, first 2 shown]
	s_clause 0x3
	global_store_b128 v[22:23], v[18:21], off
	global_store_b128 v[22:23], v[14:17], off offset:16
	global_store_b128 v[22:23], v[4:7], off offset:32
	global_store_b128 v[22:23], v[0:3], off offset:48
	s_endpgm
	.section	.rodata,"a",@progbits
	.p2align	6, 0x0
	.amdhsa_kernel _Z6kernelI2updLj256ELj8ELj100EEvPKT0_PS1_
		.amdhsa_group_segment_fixed_size 2048
		.amdhsa_private_segment_fixed_size 0
		.amdhsa_kernarg_size 16
		.amdhsa_user_sgpr_count 2
		.amdhsa_user_sgpr_dispatch_ptr 0
		.amdhsa_user_sgpr_queue_ptr 0
		.amdhsa_user_sgpr_kernarg_segment_ptr 1
		.amdhsa_user_sgpr_dispatch_id 0
		.amdhsa_user_sgpr_kernarg_preload_length 0
		.amdhsa_user_sgpr_kernarg_preload_offset 0
		.amdhsa_user_sgpr_private_segment_size 0
		.amdhsa_wavefront_size32 1
		.amdhsa_uses_dynamic_stack 0
		.amdhsa_enable_private_segment 0
		.amdhsa_system_sgpr_workgroup_id_x 1
		.amdhsa_system_sgpr_workgroup_id_y 0
		.amdhsa_system_sgpr_workgroup_id_z 0
		.amdhsa_system_sgpr_workgroup_info 0
		.amdhsa_system_vgpr_workitem_id 0
		.amdhsa_next_free_vgpr 24
		.amdhsa_next_free_sgpr 7
		.amdhsa_named_barrier_count 0
		.amdhsa_reserve_vcc 1
		.amdhsa_float_round_mode_32 0
		.amdhsa_float_round_mode_16_64 0
		.amdhsa_float_denorm_mode_32 3
		.amdhsa_float_denorm_mode_16_64 3
		.amdhsa_fp16_overflow 0
		.amdhsa_memory_ordered 1
		.amdhsa_forward_progress 1
		.amdhsa_inst_pref_size 3
		.amdhsa_round_robin_scheduling 0
		.amdhsa_exception_fp_ieee_invalid_op 0
		.amdhsa_exception_fp_denorm_src 0
		.amdhsa_exception_fp_ieee_div_zero 0
		.amdhsa_exception_fp_ieee_overflow 0
		.amdhsa_exception_fp_ieee_underflow 0
		.amdhsa_exception_fp_ieee_inexact 0
		.amdhsa_exception_int_div_zero 0
	.end_amdhsa_kernel
	.section	.text._Z6kernelI2updLj256ELj8ELj100EEvPKT0_PS1_,"axG",@progbits,_Z6kernelI2updLj256ELj8ELj100EEvPKT0_PS1_,comdat
.Lfunc_end29:
	.size	_Z6kernelI2updLj256ELj8ELj100EEvPKT0_PS1_, .Lfunc_end29-_Z6kernelI2updLj256ELj8ELj100EEvPKT0_PS1_
                                        ; -- End function
	.set _Z6kernelI2updLj256ELj8ELj100EEvPKT0_PS1_.num_vgpr, 24
	.set _Z6kernelI2updLj256ELj8ELj100EEvPKT0_PS1_.num_agpr, 0
	.set _Z6kernelI2updLj256ELj8ELj100EEvPKT0_PS1_.numbered_sgpr, 7
	.set _Z6kernelI2updLj256ELj8ELj100EEvPKT0_PS1_.num_named_barrier, 0
	.set _Z6kernelI2updLj256ELj8ELj100EEvPKT0_PS1_.private_seg_size, 0
	.set _Z6kernelI2updLj256ELj8ELj100EEvPKT0_PS1_.uses_vcc, 1
	.set _Z6kernelI2updLj256ELj8ELj100EEvPKT0_PS1_.uses_flat_scratch, 0
	.set _Z6kernelI2updLj256ELj8ELj100EEvPKT0_PS1_.has_dyn_sized_stack, 0
	.set _Z6kernelI2updLj256ELj8ELj100EEvPKT0_PS1_.has_recursion, 0
	.set _Z6kernelI2updLj256ELj8ELj100EEvPKT0_PS1_.has_indirect_call, 0
	.section	.AMDGPU.csdata,"",@progbits
; Kernel info:
; codeLenInByte = 356
; TotalNumSgprs: 9
; NumVgprs: 24
; ScratchSize: 0
; MemoryBound: 1
; FloatMode: 240
; IeeeMode: 1
; LDSByteSize: 2048 bytes/workgroup (compile time only)
; SGPRBlocks: 0
; VGPRBlocks: 1
; NumSGPRsForWavesPerEU: 9
; NumVGPRsForWavesPerEU: 24
; NamedBarCnt: 0
; Occupancy: 16
; WaveLimiterHint : 0
; COMPUTE_PGM_RSRC2:SCRATCH_EN: 0
; COMPUTE_PGM_RSRC2:USER_SGPR: 2
; COMPUTE_PGM_RSRC2:TRAP_HANDLER: 0
; COMPUTE_PGM_RSRC2:TGID_X_EN: 1
; COMPUTE_PGM_RSRC2:TGID_Y_EN: 0
; COMPUTE_PGM_RSRC2:TGID_Z_EN: 0
; COMPUTE_PGM_RSRC2:TIDIG_COMP_CNT: 0
	.section	.text._Z6kernelI2updLj256ELj16ELj100EEvPKT0_PS1_,"axG",@progbits,_Z6kernelI2updLj256ELj16ELj100EEvPKT0_PS1_,comdat
	.protected	_Z6kernelI2updLj256ELj16ELj100EEvPKT0_PS1_ ; -- Begin function _Z6kernelI2updLj256ELj16ELj100EEvPKT0_PS1_
	.globl	_Z6kernelI2updLj256ELj16ELj100EEvPKT0_PS1_
	.p2align	8
	.type	_Z6kernelI2updLj256ELj16ELj100EEvPKT0_PS1_,@function
_Z6kernelI2updLj256ELj16ELj100EEvPKT0_PS1_: ; @_Z6kernelI2updLj256ELj16ELj100EEvPKT0_PS1_
; %bb.0:
	s_load_b128 s[0:3], s[0:1], 0x0
	s_bfe_u32 s4, ttmp6, 0x4000c
	s_and_b32 s5, ttmp6, 15
	s_add_co_i32 s4, s4, 1
	s_getreg_b32 s6, hwreg(HW_REG_IB_STS2, 6, 4)
	s_mul_i32 s4, ttmp9, s4
	v_dual_lshlrev_b32 v1, 4, v0 :: v_dual_mov_b32 v37, 0
	s_add_co_i32 s5, s5, s4
	s_cmp_eq_u32 s6, 0
	v_cmp_ne_u32_e32 vcc_lo, 0, v0
	s_cselect_b32 s4, ttmp9, s5
	s_delay_alu instid0(SALU_CYCLE_1) | instskip(SKIP_1) | instid1(VALU_DEP_1)
	v_lshl_or_b32 v36, s4, 12, v1
	v_lshlrev_b32_e32 v1, 3, v0
	v_add_nc_u32_e32 v0, -8, v1
	s_wait_kmcnt 0x0
	s_delay_alu instid0(VALU_DEP_3)
	v_lshl_add_u64 v[34:35], v[36:37], 3, s[0:1]
	s_movk_i32 s0, 0x64
	s_clause 0x7
	global_load_b128 v[2:5], v[34:35], off offset:48
	global_load_b128 v[6:9], v[34:35], off offset:32
	global_load_b128 v[14:17], v[34:35], off offset:16
	global_load_b128 v[22:25], v[34:35], off
	global_load_b128 v[10:13], v[34:35], off offset:112
	global_load_b128 v[18:21], v[34:35], off offset:96
	global_load_b128 v[26:29], v[34:35], off offset:80
	global_load_b128 v[30:33], v[34:35], off offset:64
.LBB30_1:                               ; =>This Inner Loop Header: Depth=1
	s_wait_loadcnt 0x4
	s_wait_xcnt 0x0
	s_delay_alu instid0(VALU_DEP_1)
	v_mov_b64_e32 v[34:35], v[22:23]
	s_wait_loadcnt 0x3
	ds_store_b64 v1, v[12:13]
	s_wait_loadcnt_dscnt 0x0
	s_barrier_signal -1
	s_barrier_wait -1
	s_and_saveexec_b32 s1, vcc_lo
; %bb.2:                                ;   in Loop: Header=BB30_1 Depth=1
	ds_load_b64 v[34:35], v0
; %bb.3:                                ;   in Loop: Header=BB30_1 Depth=1
	s_or_b32 exec_lo, exec_lo, s1
	s_add_co_i32 s0, s0, -1
	s_wait_dscnt 0x0
	s_cmp_lg_u32 s0, 0
	s_barrier_signal -1
	s_barrier_wait -1
	s_cbranch_scc0 .LBB30_5
; %bb.4:                                ;   in Loop: Header=BB30_1 Depth=1
	v_mov_b64_e32 v[12:13], v[10:11]
	v_mov_b64_e32 v[10:11], v[20:21]
	;; [unrolled: 1-line block ×16, first 2 shown]
	s_branch .LBB30_1
.LBB30_5:
	v_lshl_add_u64 v[38:39], v[36:37], 3, s[2:3]
	v_dual_mov_b32 v36, v22 :: v_dual_mov_b32 v37, v23
	v_dual_mov_b32 v12, v24 :: v_dual_mov_b32 v13, v25
	s_clause 0x1
	global_store_b128 v[38:39], v[34:37], off
	global_store_b128 v[38:39], v[12:15], off offset:16
	s_wait_xcnt 0x0
	v_dual_mov_b32 v12, v16 :: v_dual_mov_b32 v13, v17
	v_dual_mov_b32 v14, v6 :: v_dual_mov_b32 v15, v7
	;; [unrolled: 1-line block ×8, first 2 shown]
	s_clause 0x5
	global_store_b128 v[38:39], v[12:15], off offset:32
	global_store_b128 v[38:39], v[0:3], off offset:48
	;; [unrolled: 1-line block ×6, first 2 shown]
	s_endpgm
	.section	.rodata,"a",@progbits
	.p2align	6, 0x0
	.amdhsa_kernel _Z6kernelI2updLj256ELj16ELj100EEvPKT0_PS1_
		.amdhsa_group_segment_fixed_size 2048
		.amdhsa_private_segment_fixed_size 0
		.amdhsa_kernarg_size 16
		.amdhsa_user_sgpr_count 2
		.amdhsa_user_sgpr_dispatch_ptr 0
		.amdhsa_user_sgpr_queue_ptr 0
		.amdhsa_user_sgpr_kernarg_segment_ptr 1
		.amdhsa_user_sgpr_dispatch_id 0
		.amdhsa_user_sgpr_kernarg_preload_length 0
		.amdhsa_user_sgpr_kernarg_preload_offset 0
		.amdhsa_user_sgpr_private_segment_size 0
		.amdhsa_wavefront_size32 1
		.amdhsa_uses_dynamic_stack 0
		.amdhsa_enable_private_segment 0
		.amdhsa_system_sgpr_workgroup_id_x 1
		.amdhsa_system_sgpr_workgroup_id_y 0
		.amdhsa_system_sgpr_workgroup_id_z 0
		.amdhsa_system_sgpr_workgroup_info 0
		.amdhsa_system_vgpr_workitem_id 0
		.amdhsa_next_free_vgpr 40
		.amdhsa_next_free_sgpr 7
		.amdhsa_named_barrier_count 0
		.amdhsa_reserve_vcc 1
		.amdhsa_float_round_mode_32 0
		.amdhsa_float_round_mode_16_64 0
		.amdhsa_float_denorm_mode_32 3
		.amdhsa_float_denorm_mode_16_64 3
		.amdhsa_fp16_overflow 0
		.amdhsa_memory_ordered 1
		.amdhsa_forward_progress 1
		.amdhsa_inst_pref_size 5
		.amdhsa_round_robin_scheduling 0
		.amdhsa_exception_fp_ieee_invalid_op 0
		.amdhsa_exception_fp_denorm_src 0
		.amdhsa_exception_fp_ieee_div_zero 0
		.amdhsa_exception_fp_ieee_overflow 0
		.amdhsa_exception_fp_ieee_underflow 0
		.amdhsa_exception_fp_ieee_inexact 0
		.amdhsa_exception_int_div_zero 0
	.end_amdhsa_kernel
	.section	.text._Z6kernelI2updLj256ELj16ELj100EEvPKT0_PS1_,"axG",@progbits,_Z6kernelI2updLj256ELj16ELj100EEvPKT0_PS1_,comdat
.Lfunc_end30:
	.size	_Z6kernelI2updLj256ELj16ELj100EEvPKT0_PS1_, .Lfunc_end30-_Z6kernelI2updLj256ELj16ELj100EEvPKT0_PS1_
                                        ; -- End function
	.set _Z6kernelI2updLj256ELj16ELj100EEvPKT0_PS1_.num_vgpr, 40
	.set _Z6kernelI2updLj256ELj16ELj100EEvPKT0_PS1_.num_agpr, 0
	.set _Z6kernelI2updLj256ELj16ELj100EEvPKT0_PS1_.numbered_sgpr, 7
	.set _Z6kernelI2updLj256ELj16ELj100EEvPKT0_PS1_.num_named_barrier, 0
	.set _Z6kernelI2updLj256ELj16ELj100EEvPKT0_PS1_.private_seg_size, 0
	.set _Z6kernelI2updLj256ELj16ELj100EEvPKT0_PS1_.uses_vcc, 1
	.set _Z6kernelI2updLj256ELj16ELj100EEvPKT0_PS1_.uses_flat_scratch, 0
	.set _Z6kernelI2updLj256ELj16ELj100EEvPKT0_PS1_.has_dyn_sized_stack, 0
	.set _Z6kernelI2updLj256ELj16ELj100EEvPKT0_PS1_.has_recursion, 0
	.set _Z6kernelI2updLj256ELj16ELj100EEvPKT0_PS1_.has_indirect_call, 0
	.section	.AMDGPU.csdata,"",@progbits
; Kernel info:
; codeLenInByte = 548
; TotalNumSgprs: 9
; NumVgprs: 40
; ScratchSize: 0
; MemoryBound: 1
; FloatMode: 240
; IeeeMode: 1
; LDSByteSize: 2048 bytes/workgroup (compile time only)
; SGPRBlocks: 0
; VGPRBlocks: 2
; NumSGPRsForWavesPerEU: 9
; NumVGPRsForWavesPerEU: 40
; NamedBarCnt: 0
; Occupancy: 16
; WaveLimiterHint : 0
; COMPUTE_PGM_RSRC2:SCRATCH_EN: 0
; COMPUTE_PGM_RSRC2:USER_SGPR: 2
; COMPUTE_PGM_RSRC2:TRAP_HANDLER: 0
; COMPUTE_PGM_RSRC2:TGID_X_EN: 1
; COMPUTE_PGM_RSRC2:TGID_Y_EN: 0
; COMPUTE_PGM_RSRC2:TGID_Z_EN: 0
; COMPUTE_PGM_RSRC2:TIDIG_COMP_CNT: 0
	.section	.text._Z6kernelI2updLj256ELj32ELj100EEvPKT0_PS1_,"axG",@progbits,_Z6kernelI2updLj256ELj32ELj100EEvPKT0_PS1_,comdat
	.protected	_Z6kernelI2updLj256ELj32ELj100EEvPKT0_PS1_ ; -- Begin function _Z6kernelI2updLj256ELj32ELj100EEvPKT0_PS1_
	.globl	_Z6kernelI2updLj256ELj32ELj100EEvPKT0_PS1_
	.p2align	8
	.type	_Z6kernelI2updLj256ELj32ELj100EEvPKT0_PS1_,@function
_Z6kernelI2updLj256ELj32ELj100EEvPKT0_PS1_: ; @_Z6kernelI2updLj256ELj32ELj100EEvPKT0_PS1_
; %bb.0:
	s_load_b128 s[0:3], s[0:1], 0x0
	s_bfe_u32 s4, ttmp6, 0x4000c
	s_and_b32 s5, ttmp6, 15
	s_add_co_i32 s4, s4, 1
	s_getreg_b32 s6, hwreg(HW_REG_IB_STS2, 6, 4)
	s_mul_i32 s4, ttmp9, s4
	v_dual_lshlrev_b32 v1, 5, v0 :: v_dual_mov_b32 v69, 0
	s_add_co_i32 s5, s5, s4
	s_cmp_eq_u32 s6, 0
	v_cmp_ne_u32_e32 vcc_lo, 0, v0
	s_cselect_b32 s4, ttmp9, s5
	s_delay_alu instid0(SALU_CYCLE_1) | instskip(SKIP_1) | instid1(VALU_DEP_1)
	v_lshl_or_b32 v68, s4, 13, v1
	v_lshlrev_b32_e32 v1, 3, v0
	v_add_nc_u32_e32 v0, -8, v1
	s_wait_kmcnt 0x0
	s_delay_alu instid0(VALU_DEP_3)
	v_lshl_add_u64 v[18:19], v[68:69], 3, s[0:1]
	s_movk_i32 s0, 0x64
	s_clause 0xf
	global_load_b128 v[46:49], v[18:19], off offset:48
	global_load_b128 v[54:57], v[18:19], off offset:32
	;; [unrolled: 1-line block ×3, first 2 shown]
	global_load_b128 v[62:65], v[18:19], off
	global_load_b128 v[30:33], v[18:19], off offset:112
	global_load_b128 v[38:41], v[18:19], off offset:96
	;; [unrolled: 1-line block ×12, first 2 shown]
.LBB31_1:                               ; =>This Inner Loop Header: Depth=1
	s_wait_loadcnt 0xc
	s_delay_alu instid0(VALU_DEP_1)
	v_mov_b64_e32 v[66:67], v[62:63]
	s_wait_loadcnt 0x3
	ds_store_b64 v1, v[4:5]
	s_wait_loadcnt_dscnt 0x0
	s_barrier_signal -1
	s_barrier_wait -1
	s_and_saveexec_b32 s1, vcc_lo
; %bb.2:                                ;   in Loop: Header=BB31_1 Depth=1
	ds_load_b64 v[66:67], v0
; %bb.3:                                ;   in Loop: Header=BB31_1 Depth=1
	s_or_b32 exec_lo, exec_lo, s1
	s_add_co_i32 s0, s0, -1
	s_wait_dscnt 0x0
	s_cmp_lg_u32 s0, 0
	s_barrier_signal -1
	s_barrier_wait -1
	s_cbranch_scc0 .LBB31_5
; %bb.4:                                ;   in Loop: Header=BB31_1 Depth=1
	v_mov_b64_e32 v[4:5], v[2:3]
	v_mov_b64_e32 v[2:3], v[8:9]
	;; [unrolled: 1-line block ×32, first 2 shown]
	s_branch .LBB31_1
.LBB31_5:
	v_lshl_add_u64 v[70:71], v[68:69], 3, s[2:3]
	v_dual_mov_b32 v68, v62 :: v_dual_mov_b32 v69, v63
	v_dual_mov_b32 v62, v64 :: v_dual_mov_b32 v63, v65
	;; [unrolled: 1-line block ×28, first 2 shown]
	s_clause 0x9
	global_store_b128 v[70:71], v[66:69], off
	global_store_b128 v[70:71], v[62:65], off offset:16
	global_store_b128 v[70:71], v[58:61], off offset:32
	;; [unrolled: 1-line block ×9, first 2 shown]
	v_dual_mov_b32 v0, v8 :: v_dual_mov_b32 v1, v9
	s_clause 0x5
	global_store_b128 v[70:71], v[26:29], off offset:160
	global_store_b128 v[70:71], v[22:25], off offset:176
	;; [unrolled: 1-line block ×6, first 2 shown]
	s_sendmsg sendmsg(MSG_DEALLOC_VGPRS)
	s_endpgm
	.section	.rodata,"a",@progbits
	.p2align	6, 0x0
	.amdhsa_kernel _Z6kernelI2updLj256ELj32ELj100EEvPKT0_PS1_
		.amdhsa_group_segment_fixed_size 2048
		.amdhsa_private_segment_fixed_size 0
		.amdhsa_kernarg_size 16
		.amdhsa_user_sgpr_count 2
		.amdhsa_user_sgpr_dispatch_ptr 0
		.amdhsa_user_sgpr_queue_ptr 0
		.amdhsa_user_sgpr_kernarg_segment_ptr 1
		.amdhsa_user_sgpr_dispatch_id 0
		.amdhsa_user_sgpr_kernarg_preload_length 0
		.amdhsa_user_sgpr_kernarg_preload_offset 0
		.amdhsa_user_sgpr_private_segment_size 0
		.amdhsa_wavefront_size32 1
		.amdhsa_uses_dynamic_stack 0
		.amdhsa_enable_private_segment 0
		.amdhsa_system_sgpr_workgroup_id_x 1
		.amdhsa_system_sgpr_workgroup_id_y 0
		.amdhsa_system_sgpr_workgroup_id_z 0
		.amdhsa_system_sgpr_workgroup_info 0
		.amdhsa_system_vgpr_workitem_id 0
		.amdhsa_next_free_vgpr 72
		.amdhsa_next_free_sgpr 7
		.amdhsa_named_barrier_count 0
		.amdhsa_reserve_vcc 1
		.amdhsa_float_round_mode_32 0
		.amdhsa_float_round_mode_16_64 0
		.amdhsa_float_denorm_mode_32 3
		.amdhsa_float_denorm_mode_16_64 3
		.amdhsa_fp16_overflow 0
		.amdhsa_memory_ordered 1
		.amdhsa_forward_progress 1
		.amdhsa_inst_pref_size 8
		.amdhsa_round_robin_scheduling 0
		.amdhsa_exception_fp_ieee_invalid_op 0
		.amdhsa_exception_fp_denorm_src 0
		.amdhsa_exception_fp_ieee_div_zero 0
		.amdhsa_exception_fp_ieee_overflow 0
		.amdhsa_exception_fp_ieee_underflow 0
		.amdhsa_exception_fp_ieee_inexact 0
		.amdhsa_exception_int_div_zero 0
	.end_amdhsa_kernel
	.section	.text._Z6kernelI2updLj256ELj32ELj100EEvPKT0_PS1_,"axG",@progbits,_Z6kernelI2updLj256ELj32ELj100EEvPKT0_PS1_,comdat
.Lfunc_end31:
	.size	_Z6kernelI2updLj256ELj32ELj100EEvPKT0_PS1_, .Lfunc_end31-_Z6kernelI2updLj256ELj32ELj100EEvPKT0_PS1_
                                        ; -- End function
	.set _Z6kernelI2updLj256ELj32ELj100EEvPKT0_PS1_.num_vgpr, 72
	.set _Z6kernelI2updLj256ELj32ELj100EEvPKT0_PS1_.num_agpr, 0
	.set _Z6kernelI2updLj256ELj32ELj100EEvPKT0_PS1_.numbered_sgpr, 7
	.set _Z6kernelI2updLj256ELj32ELj100EEvPKT0_PS1_.num_named_barrier, 0
	.set _Z6kernelI2updLj256ELj32ELj100EEvPKT0_PS1_.private_seg_size, 0
	.set _Z6kernelI2updLj256ELj32ELj100EEvPKT0_PS1_.uses_vcc, 1
	.set _Z6kernelI2updLj256ELj32ELj100EEvPKT0_PS1_.uses_flat_scratch, 0
	.set _Z6kernelI2updLj256ELj32ELj100EEvPKT0_PS1_.has_dyn_sized_stack, 0
	.set _Z6kernelI2updLj256ELj32ELj100EEvPKT0_PS1_.has_recursion, 0
	.set _Z6kernelI2updLj256ELj32ELj100EEvPKT0_PS1_.has_indirect_call, 0
	.section	.AMDGPU.csdata,"",@progbits
; Kernel info:
; codeLenInByte = 952
; TotalNumSgprs: 9
; NumVgprs: 72
; ScratchSize: 0
; MemoryBound: 1
; FloatMode: 240
; IeeeMode: 1
; LDSByteSize: 2048 bytes/workgroup (compile time only)
; SGPRBlocks: 0
; VGPRBlocks: 4
; NumSGPRsForWavesPerEU: 9
; NumVGPRsForWavesPerEU: 72
; NamedBarCnt: 0
; Occupancy: 12
; WaveLimiterHint : 0
; COMPUTE_PGM_RSRC2:SCRATCH_EN: 0
; COMPUTE_PGM_RSRC2:USER_SGPR: 2
; COMPUTE_PGM_RSRC2:TRAP_HANDLER: 0
; COMPUTE_PGM_RSRC2:TGID_X_EN: 1
; COMPUTE_PGM_RSRC2:TGID_Y_EN: 0
; COMPUTE_PGM_RSRC2:TGID_Z_EN: 0
; COMPUTE_PGM_RSRC2:TIDIG_COMP_CNT: 0
	.section	.text._Z6kernelI2upaLj256ELj1ELj100EEvPKT0_PS1_,"axG",@progbits,_Z6kernelI2upaLj256ELj1ELj100EEvPKT0_PS1_,comdat
	.protected	_Z6kernelI2upaLj256ELj1ELj100EEvPKT0_PS1_ ; -- Begin function _Z6kernelI2upaLj256ELj1ELj100EEvPKT0_PS1_
	.globl	_Z6kernelI2upaLj256ELj1ELj100EEvPKT0_PS1_
	.p2align	8
	.type	_Z6kernelI2upaLj256ELj1ELj100EEvPKT0_PS1_,@function
_Z6kernelI2upaLj256ELj1ELj100EEvPKT0_PS1_: ; @_Z6kernelI2upaLj256ELj1ELj100EEvPKT0_PS1_
; %bb.0:
	s_load_b128 s[0:3], s[0:1], 0x0
	s_bfe_u32 s4, ttmp6, 0x4000c
	s_and_b32 s5, ttmp6, 15
	s_add_co_i32 s4, s4, 1
	s_getreg_b32 s6, hwreg(HW_REG_IB_STS2, 6, 4)
	s_mul_i32 s4, ttmp9, s4
	v_dual_mov_b32 v3, 0 :: v_dual_add_nc_u32 v4, -1, v0
	s_add_co_i32 s5, s5, s4
	s_cmp_eq_u32 s6, 0
	v_cmp_ne_u32_e32 vcc_lo, 0, v0
	s_cselect_b32 s4, ttmp9, s5
	s_delay_alu instid0(SALU_CYCLE_1)
	v_lshl_or_b32 v2, s4, 8, v0
	s_wait_kmcnt 0x0
	global_load_u8 v1, v2, s[0:1]
	s_wait_xcnt 0x0
	s_movk_i32 s0, 0x64
	s_branch .LBB32_2
.LBB32_1:                               ;   in Loop: Header=BB32_2 Depth=1
	s_or_b32 exec_lo, exec_lo, s1
	s_add_co_i32 s0, s0, -1
	s_wait_dscnt 0x0
	s_cmp_lg_u32 s0, 0
	s_barrier_signal -1
	s_barrier_wait -1
	s_cbranch_scc0 .LBB32_4
.LBB32_2:                               ; =>This Inner Loop Header: Depth=1
	s_wait_loadcnt 0x0
	ds_store_b8 v0, v1
	s_wait_dscnt 0x0
	s_barrier_signal -1
	s_barrier_wait -1
	s_and_saveexec_b32 s1, vcc_lo
	s_cbranch_execz .LBB32_1
; %bb.3:                                ;   in Loop: Header=BB32_2 Depth=1
	ds_load_u8 v1, v4
	s_branch .LBB32_1
.LBB32_4:
	v_add_nc_u64_e32 v[2:3], s[2:3], v[2:3]
	global_store_b8 v[2:3], v1, off
	s_endpgm
	.section	.rodata,"a",@progbits
	.p2align	6, 0x0
	.amdhsa_kernel _Z6kernelI2upaLj256ELj1ELj100EEvPKT0_PS1_
		.amdhsa_group_segment_fixed_size 256
		.amdhsa_private_segment_fixed_size 0
		.amdhsa_kernarg_size 16
		.amdhsa_user_sgpr_count 2
		.amdhsa_user_sgpr_dispatch_ptr 0
		.amdhsa_user_sgpr_queue_ptr 0
		.amdhsa_user_sgpr_kernarg_segment_ptr 1
		.amdhsa_user_sgpr_dispatch_id 0
		.amdhsa_user_sgpr_kernarg_preload_length 0
		.amdhsa_user_sgpr_kernarg_preload_offset 0
		.amdhsa_user_sgpr_private_segment_size 0
		.amdhsa_wavefront_size32 1
		.amdhsa_uses_dynamic_stack 0
		.amdhsa_enable_private_segment 0
		.amdhsa_system_sgpr_workgroup_id_x 1
		.amdhsa_system_sgpr_workgroup_id_y 0
		.amdhsa_system_sgpr_workgroup_id_z 0
		.amdhsa_system_sgpr_workgroup_info 0
		.amdhsa_system_vgpr_workitem_id 0
		.amdhsa_next_free_vgpr 5
		.amdhsa_next_free_sgpr 7
		.amdhsa_named_barrier_count 0
		.amdhsa_reserve_vcc 1
		.amdhsa_float_round_mode_32 0
		.amdhsa_float_round_mode_16_64 0
		.amdhsa_float_denorm_mode_32 3
		.amdhsa_float_denorm_mode_16_64 3
		.amdhsa_fp16_overflow 0
		.amdhsa_memory_ordered 1
		.amdhsa_forward_progress 1
		.amdhsa_inst_pref_size 2
		.amdhsa_round_robin_scheduling 0
		.amdhsa_exception_fp_ieee_invalid_op 0
		.amdhsa_exception_fp_denorm_src 0
		.amdhsa_exception_fp_ieee_div_zero 0
		.amdhsa_exception_fp_ieee_overflow 0
		.amdhsa_exception_fp_ieee_underflow 0
		.amdhsa_exception_fp_ieee_inexact 0
		.amdhsa_exception_int_div_zero 0
	.end_amdhsa_kernel
	.section	.text._Z6kernelI2upaLj256ELj1ELj100EEvPKT0_PS1_,"axG",@progbits,_Z6kernelI2upaLj256ELj1ELj100EEvPKT0_PS1_,comdat
.Lfunc_end32:
	.size	_Z6kernelI2upaLj256ELj1ELj100EEvPKT0_PS1_, .Lfunc_end32-_Z6kernelI2upaLj256ELj1ELj100EEvPKT0_PS1_
                                        ; -- End function
	.set _Z6kernelI2upaLj256ELj1ELj100EEvPKT0_PS1_.num_vgpr, 5
	.set _Z6kernelI2upaLj256ELj1ELj100EEvPKT0_PS1_.num_agpr, 0
	.set _Z6kernelI2upaLj256ELj1ELj100EEvPKT0_PS1_.numbered_sgpr, 7
	.set _Z6kernelI2upaLj256ELj1ELj100EEvPKT0_PS1_.num_named_barrier, 0
	.set _Z6kernelI2upaLj256ELj1ELj100EEvPKT0_PS1_.private_seg_size, 0
	.set _Z6kernelI2upaLj256ELj1ELj100EEvPKT0_PS1_.uses_vcc, 1
	.set _Z6kernelI2upaLj256ELj1ELj100EEvPKT0_PS1_.uses_flat_scratch, 0
	.set _Z6kernelI2upaLj256ELj1ELj100EEvPKT0_PS1_.has_dyn_sized_stack, 0
	.set _Z6kernelI2upaLj256ELj1ELj100EEvPKT0_PS1_.has_recursion, 0
	.set _Z6kernelI2upaLj256ELj1ELj100EEvPKT0_PS1_.has_indirect_call, 0
	.section	.AMDGPU.csdata,"",@progbits
; Kernel info:
; codeLenInByte = 188
; TotalNumSgprs: 9
; NumVgprs: 5
; ScratchSize: 0
; MemoryBound: 0
; FloatMode: 240
; IeeeMode: 1
; LDSByteSize: 256 bytes/workgroup (compile time only)
; SGPRBlocks: 0
; VGPRBlocks: 0
; NumSGPRsForWavesPerEU: 9
; NumVGPRsForWavesPerEU: 5
; NamedBarCnt: 0
; Occupancy: 16
; WaveLimiterHint : 0
; COMPUTE_PGM_RSRC2:SCRATCH_EN: 0
; COMPUTE_PGM_RSRC2:USER_SGPR: 2
; COMPUTE_PGM_RSRC2:TRAP_HANDLER: 0
; COMPUTE_PGM_RSRC2:TGID_X_EN: 1
; COMPUTE_PGM_RSRC2:TGID_Y_EN: 0
; COMPUTE_PGM_RSRC2:TGID_Z_EN: 0
; COMPUTE_PGM_RSRC2:TIDIG_COMP_CNT: 0
	.section	.text._Z6kernelI2upaLj256ELj3ELj100EEvPKT0_PS1_,"axG",@progbits,_Z6kernelI2upaLj256ELj3ELj100EEvPKT0_PS1_,comdat
	.protected	_Z6kernelI2upaLj256ELj3ELj100EEvPKT0_PS1_ ; -- Begin function _Z6kernelI2upaLj256ELj3ELj100EEvPKT0_PS1_
	.globl	_Z6kernelI2upaLj256ELj3ELj100EEvPKT0_PS1_
	.p2align	8
	.type	_Z6kernelI2upaLj256ELj3ELj100EEvPKT0_PS1_,@function
_Z6kernelI2upaLj256ELj3ELj100EEvPKT0_PS1_: ; @_Z6kernelI2upaLj256ELj3ELj100EEvPKT0_PS1_
; %bb.0:
	s_bfe_u32 s4, ttmp6, 0x4000c
	s_and_b32 s5, ttmp6, 15
	s_add_co_i32 s4, s4, 1
	s_load_b128 s[0:3], s[0:1], 0x0
	s_mul_i32 s4, ttmp9, s4
	s_getreg_b32 s6, hwreg(HW_REG_IB_STS2, 6, 4)
	s_add_co_i32 s5, s5, s4
	s_cmp_eq_u32 s6, 0
	v_mov_b32_e32 v3, 0
	s_cselect_b32 s4, ttmp9, s5
	v_cmp_ne_u32_e32 vcc_lo, 0, v0
	v_lshl_or_b32 v1, s4, 8, v0
	s_delay_alu instid0(VALU_DEP_1) | instskip(NEXT) | instid1(VALU_DEP_1)
	v_lshl_add_u32 v2, v1, 1, v1
	v_dual_add_nc_u32 v4, 1, v2 :: v_dual_add_nc_u32 v6, 2, v2
	s_wait_kmcnt 0x0
	s_clause 0x2
	global_load_u8 v1, v2, s[0:1]
	global_load_u8 v5, v4, s[0:1]
	global_load_u8 v8, v6, s[0:1]
	s_wait_xcnt 0x0
	s_movk_i32 s0, 0x64
	s_wait_loadcnt 0x1
	v_perm_b32 v1, v1, v5, 0xc0c0004
	s_wait_loadcnt 0x0
	s_delay_alu instid0(VALU_DEP_1)
	v_lshl_or_b32 v1, v8, 16, v1
	v_dual_mov_b32 v5, v3 :: v_dual_add_nc_u32 v8, -1, v0
	v_mov_b32_e32 v7, v3
	s_branch .LBB33_2
.LBB33_1:                               ;   in Loop: Header=BB33_2 Depth=1
	s_or_b32 exec_lo, exec_lo, s1
	s_add_co_i32 s0, s0, -1
	s_delay_alu instid0(SALU_CYCLE_1)
	s_cmp_lg_u32 s0, 0
	s_barrier_signal -1
	s_barrier_wait -1
	s_cbranch_scc0 .LBB33_4
.LBB33_2:                               ; =>This Inner Loop Header: Depth=1
	s_delay_alu instid0(VALU_DEP_3)
	v_lshlrev_b16 v9, 8, v1
	v_lshrrev_b16 v10, 8, v1
	ds_store_b8_d16_hi v0, v1
	s_wait_dscnt 0x0
	s_barrier_signal -1
	v_perm_b32 v9, v1, v9, 0xc0c0104
	v_lshlrev_b32_e32 v10, 16, v10
	s_barrier_wait -1
	s_delay_alu instid0(VALU_DEP_1)
	v_or_b32_e32 v1, v9, v10
	s_and_saveexec_b32 s1, vcc_lo
	s_cbranch_execz .LBB33_1
; %bb.3:                                ;   in Loop: Header=BB33_2 Depth=1
	ds_load_u8 v9, v8
	s_wait_dscnt 0x0
	v_perm_b32 v1, v9, v1, 0x3020104
	s_branch .LBB33_1
.LBB33_4:
	v_add_nc_u64_e32 v[2:3], s[2:3], v[2:3]
	v_add_nc_u64_e32 v[4:5], s[2:3], v[4:5]
	;; [unrolled: 1-line block ×3, first 2 shown]
	v_lshrrev_b32_e32 v0, 8, v1
	s_clause 0x2
	global_store_b8 v[2:3], v1, off
	global_store_b8 v[4:5], v0, off
	global_store_d16_hi_b8 v[6:7], v1, off
	s_endpgm
	.section	.rodata,"a",@progbits
	.p2align	6, 0x0
	.amdhsa_kernel _Z6kernelI2upaLj256ELj3ELj100EEvPKT0_PS1_
		.amdhsa_group_segment_fixed_size 256
		.amdhsa_private_segment_fixed_size 0
		.amdhsa_kernarg_size 16
		.amdhsa_user_sgpr_count 2
		.amdhsa_user_sgpr_dispatch_ptr 0
		.amdhsa_user_sgpr_queue_ptr 0
		.amdhsa_user_sgpr_kernarg_segment_ptr 1
		.amdhsa_user_sgpr_dispatch_id 0
		.amdhsa_user_sgpr_kernarg_preload_length 0
		.amdhsa_user_sgpr_kernarg_preload_offset 0
		.amdhsa_user_sgpr_private_segment_size 0
		.amdhsa_wavefront_size32 1
		.amdhsa_uses_dynamic_stack 0
		.amdhsa_enable_private_segment 0
		.amdhsa_system_sgpr_workgroup_id_x 1
		.amdhsa_system_sgpr_workgroup_id_y 0
		.amdhsa_system_sgpr_workgroup_id_z 0
		.amdhsa_system_sgpr_workgroup_info 0
		.amdhsa_system_vgpr_workitem_id 0
		.amdhsa_next_free_vgpr 11
		.amdhsa_next_free_sgpr 7
		.amdhsa_named_barrier_count 0
		.amdhsa_reserve_vcc 1
		.amdhsa_float_round_mode_32 0
		.amdhsa_float_round_mode_16_64 0
		.amdhsa_float_denorm_mode_32 3
		.amdhsa_float_denorm_mode_16_64 3
		.amdhsa_fp16_overflow 0
		.amdhsa_memory_ordered 1
		.amdhsa_forward_progress 1
		.amdhsa_inst_pref_size 3
		.amdhsa_round_robin_scheduling 0
		.amdhsa_exception_fp_ieee_invalid_op 0
		.amdhsa_exception_fp_denorm_src 0
		.amdhsa_exception_fp_ieee_div_zero 0
		.amdhsa_exception_fp_ieee_overflow 0
		.amdhsa_exception_fp_ieee_underflow 0
		.amdhsa_exception_fp_ieee_inexact 0
		.amdhsa_exception_int_div_zero 0
	.end_amdhsa_kernel
	.section	.text._Z6kernelI2upaLj256ELj3ELj100EEvPKT0_PS1_,"axG",@progbits,_Z6kernelI2upaLj256ELj3ELj100EEvPKT0_PS1_,comdat
.Lfunc_end33:
	.size	_Z6kernelI2upaLj256ELj3ELj100EEvPKT0_PS1_, .Lfunc_end33-_Z6kernelI2upaLj256ELj3ELj100EEvPKT0_PS1_
                                        ; -- End function
	.set _Z6kernelI2upaLj256ELj3ELj100EEvPKT0_PS1_.num_vgpr, 11
	.set _Z6kernelI2upaLj256ELj3ELj100EEvPKT0_PS1_.num_agpr, 0
	.set _Z6kernelI2upaLj256ELj3ELj100EEvPKT0_PS1_.numbered_sgpr, 7
	.set _Z6kernelI2upaLj256ELj3ELj100EEvPKT0_PS1_.num_named_barrier, 0
	.set _Z6kernelI2upaLj256ELj3ELj100EEvPKT0_PS1_.private_seg_size, 0
	.set _Z6kernelI2upaLj256ELj3ELj100EEvPKT0_PS1_.uses_vcc, 1
	.set _Z6kernelI2upaLj256ELj3ELj100EEvPKT0_PS1_.uses_flat_scratch, 0
	.set _Z6kernelI2upaLj256ELj3ELj100EEvPKT0_PS1_.has_dyn_sized_stack, 0
	.set _Z6kernelI2upaLj256ELj3ELj100EEvPKT0_PS1_.has_recursion, 0
	.set _Z6kernelI2upaLj256ELj3ELj100EEvPKT0_PS1_.has_indirect_call, 0
	.section	.AMDGPU.csdata,"",@progbits
; Kernel info:
; codeLenInByte = 372
; TotalNumSgprs: 9
; NumVgprs: 11
; ScratchSize: 0
; MemoryBound: 0
; FloatMode: 240
; IeeeMode: 1
; LDSByteSize: 256 bytes/workgroup (compile time only)
; SGPRBlocks: 0
; VGPRBlocks: 0
; NumSGPRsForWavesPerEU: 9
; NumVGPRsForWavesPerEU: 11
; NamedBarCnt: 0
; Occupancy: 16
; WaveLimiterHint : 0
; COMPUTE_PGM_RSRC2:SCRATCH_EN: 0
; COMPUTE_PGM_RSRC2:USER_SGPR: 2
; COMPUTE_PGM_RSRC2:TRAP_HANDLER: 0
; COMPUTE_PGM_RSRC2:TGID_X_EN: 1
; COMPUTE_PGM_RSRC2:TGID_Y_EN: 0
; COMPUTE_PGM_RSRC2:TGID_Z_EN: 0
; COMPUTE_PGM_RSRC2:TIDIG_COMP_CNT: 0
	.section	.text._Z6kernelI2upaLj256ELj4ELj100EEvPKT0_PS1_,"axG",@progbits,_Z6kernelI2upaLj256ELj4ELj100EEvPKT0_PS1_,comdat
	.protected	_Z6kernelI2upaLj256ELj4ELj100EEvPKT0_PS1_ ; -- Begin function _Z6kernelI2upaLj256ELj4ELj100EEvPKT0_PS1_
	.globl	_Z6kernelI2upaLj256ELj4ELj100EEvPKT0_PS1_
	.p2align	8
	.type	_Z6kernelI2upaLj256ELj4ELj100EEvPKT0_PS1_,@function
_Z6kernelI2upaLj256ELj4ELj100EEvPKT0_PS1_: ; @_Z6kernelI2upaLj256ELj4ELj100EEvPKT0_PS1_
; %bb.0:
	s_load_b128 s[0:3], s[0:1], 0x0
	s_bfe_u32 s4, ttmp6, 0x4000c
	s_and_b32 s5, ttmp6, 15
	s_add_co_i32 s4, s4, 1
	s_getreg_b32 s6, hwreg(HW_REG_IB_STS2, 6, 4)
	s_mul_i32 s4, ttmp9, s4
	v_dual_lshlrev_b32 v1, 2, v0 :: v_dual_mov_b32 v3, 0
	s_add_co_i32 s5, s5, s4
	s_cmp_eq_u32 s6, 0
	v_add_nc_u32_e32 v4, -1, v0
	s_cselect_b32 s4, ttmp9, s5
	v_cmp_ne_u32_e32 vcc_lo, 0, v0
	v_lshl_or_b32 v2, s4, 10, v1
	s_wait_kmcnt 0x0
	global_load_b32 v1, v2, s[0:1]
	s_wait_xcnt 0x0
	s_movk_i32 s0, 0x64
	s_branch .LBB34_2
.LBB34_1:                               ;   in Loop: Header=BB34_2 Depth=1
	s_or_b32 exec_lo, exec_lo, s1
	s_add_co_i32 s0, s0, -1
	s_delay_alu instid0(SALU_CYCLE_1)
	s_cmp_lg_u32 s0, 0
	s_barrier_signal -1
	s_barrier_wait -1
	s_cbranch_scc0 .LBB34_4
.LBB34_2:                               ; =>This Inner Loop Header: Depth=1
	s_wait_loadcnt 0x0
	v_lshrrev_b32_e32 v5, 24, v1
	v_perm_b32 v1, v1, v1, 0x6050404
	ds_store_b8 v0, v5
	s_wait_dscnt 0x0
	s_barrier_signal -1
	s_barrier_wait -1
	s_and_saveexec_b32 s1, vcc_lo
	s_cbranch_execz .LBB34_1
; %bb.3:                                ;   in Loop: Header=BB34_2 Depth=1
	ds_load_u8 v5, v4
	s_wait_dscnt 0x0
	v_perm_b32 v1, v5, v1, 0x3020104
	s_branch .LBB34_1
.LBB34_4:
	v_add_nc_u64_e32 v[2:3], s[2:3], v[2:3]
	global_store_b32 v[2:3], v1, off
	s_endpgm
	.section	.rodata,"a",@progbits
	.p2align	6, 0x0
	.amdhsa_kernel _Z6kernelI2upaLj256ELj4ELj100EEvPKT0_PS1_
		.amdhsa_group_segment_fixed_size 256
		.amdhsa_private_segment_fixed_size 0
		.amdhsa_kernarg_size 16
		.amdhsa_user_sgpr_count 2
		.amdhsa_user_sgpr_dispatch_ptr 0
		.amdhsa_user_sgpr_queue_ptr 0
		.amdhsa_user_sgpr_kernarg_segment_ptr 1
		.amdhsa_user_sgpr_dispatch_id 0
		.amdhsa_user_sgpr_kernarg_preload_length 0
		.amdhsa_user_sgpr_kernarg_preload_offset 0
		.amdhsa_user_sgpr_private_segment_size 0
		.amdhsa_wavefront_size32 1
		.amdhsa_uses_dynamic_stack 0
		.amdhsa_enable_private_segment 0
		.amdhsa_system_sgpr_workgroup_id_x 1
		.amdhsa_system_sgpr_workgroup_id_y 0
		.amdhsa_system_sgpr_workgroup_id_z 0
		.amdhsa_system_sgpr_workgroup_info 0
		.amdhsa_system_vgpr_workitem_id 0
		.amdhsa_next_free_vgpr 6
		.amdhsa_next_free_sgpr 7
		.amdhsa_named_barrier_count 0
		.amdhsa_reserve_vcc 1
		.amdhsa_float_round_mode_32 0
		.amdhsa_float_round_mode_16_64 0
		.amdhsa_float_denorm_mode_32 3
		.amdhsa_float_denorm_mode_16_64 3
		.amdhsa_fp16_overflow 0
		.amdhsa_memory_ordered 1
		.amdhsa_forward_progress 1
		.amdhsa_inst_pref_size 2
		.amdhsa_round_robin_scheduling 0
		.amdhsa_exception_fp_ieee_invalid_op 0
		.amdhsa_exception_fp_denorm_src 0
		.amdhsa_exception_fp_ieee_div_zero 0
		.amdhsa_exception_fp_ieee_overflow 0
		.amdhsa_exception_fp_ieee_underflow 0
		.amdhsa_exception_fp_ieee_inexact 0
		.amdhsa_exception_int_div_zero 0
	.end_amdhsa_kernel
	.section	.text._Z6kernelI2upaLj256ELj4ELj100EEvPKT0_PS1_,"axG",@progbits,_Z6kernelI2upaLj256ELj4ELj100EEvPKT0_PS1_,comdat
.Lfunc_end34:
	.size	_Z6kernelI2upaLj256ELj4ELj100EEvPKT0_PS1_, .Lfunc_end34-_Z6kernelI2upaLj256ELj4ELj100EEvPKT0_PS1_
                                        ; -- End function
	.set _Z6kernelI2upaLj256ELj4ELj100EEvPKT0_PS1_.num_vgpr, 6
	.set _Z6kernelI2upaLj256ELj4ELj100EEvPKT0_PS1_.num_agpr, 0
	.set _Z6kernelI2upaLj256ELj4ELj100EEvPKT0_PS1_.numbered_sgpr, 7
	.set _Z6kernelI2upaLj256ELj4ELj100EEvPKT0_PS1_.num_named_barrier, 0
	.set _Z6kernelI2upaLj256ELj4ELj100EEvPKT0_PS1_.private_seg_size, 0
	.set _Z6kernelI2upaLj256ELj4ELj100EEvPKT0_PS1_.uses_vcc, 1
	.set _Z6kernelI2upaLj256ELj4ELj100EEvPKT0_PS1_.uses_flat_scratch, 0
	.set _Z6kernelI2upaLj256ELj4ELj100EEvPKT0_PS1_.has_dyn_sized_stack, 0
	.set _Z6kernelI2upaLj256ELj4ELj100EEvPKT0_PS1_.has_recursion, 0
	.set _Z6kernelI2upaLj256ELj4ELj100EEvPKT0_PS1_.has_indirect_call, 0
	.section	.AMDGPU.csdata,"",@progbits
; Kernel info:
; codeLenInByte = 224
; TotalNumSgprs: 9
; NumVgprs: 6
; ScratchSize: 0
; MemoryBound: 0
; FloatMode: 240
; IeeeMode: 1
; LDSByteSize: 256 bytes/workgroup (compile time only)
; SGPRBlocks: 0
; VGPRBlocks: 0
; NumSGPRsForWavesPerEU: 9
; NumVGPRsForWavesPerEU: 6
; NamedBarCnt: 0
; Occupancy: 16
; WaveLimiterHint : 0
; COMPUTE_PGM_RSRC2:SCRATCH_EN: 0
; COMPUTE_PGM_RSRC2:USER_SGPR: 2
; COMPUTE_PGM_RSRC2:TRAP_HANDLER: 0
; COMPUTE_PGM_RSRC2:TGID_X_EN: 1
; COMPUTE_PGM_RSRC2:TGID_Y_EN: 0
; COMPUTE_PGM_RSRC2:TGID_Z_EN: 0
; COMPUTE_PGM_RSRC2:TIDIG_COMP_CNT: 0
	.section	.text._Z6kernelI2upaLj256ELj8ELj100EEvPKT0_PS1_,"axG",@progbits,_Z6kernelI2upaLj256ELj8ELj100EEvPKT0_PS1_,comdat
	.protected	_Z6kernelI2upaLj256ELj8ELj100EEvPKT0_PS1_ ; -- Begin function _Z6kernelI2upaLj256ELj8ELj100EEvPKT0_PS1_
	.globl	_Z6kernelI2upaLj256ELj8ELj100EEvPKT0_PS1_
	.p2align	8
	.type	_Z6kernelI2upaLj256ELj8ELj100EEvPKT0_PS1_,@function
_Z6kernelI2upaLj256ELj8ELj100EEvPKT0_PS1_: ; @_Z6kernelI2upaLj256ELj8ELj100EEvPKT0_PS1_
; %bb.0:
	s_load_b128 s[0:3], s[0:1], 0x0
	s_bfe_u32 s4, ttmp6, 0x4000c
	s_and_b32 s5, ttmp6, 15
	s_add_co_i32 s4, s4, 1
	s_getreg_b32 s6, hwreg(HW_REG_IB_STS2, 6, 4)
	s_mul_i32 s4, ttmp9, s4
	v_dual_lshlrev_b32 v1, 3, v0 :: v_dual_mov_b32 v3, 0
	s_add_co_i32 s5, s5, s4
	s_cmp_eq_u32 s6, 0
	v_cmp_ne_u32_e32 vcc_lo, 0, v0
	s_cselect_b32 s4, ttmp9, s5
	s_delay_alu instid0(SALU_CYCLE_1)
	v_lshl_or_b32 v2, s4, 11, v1
	v_add_nc_u32_e32 v1, -1, v0
	s_wait_kmcnt 0x0
	global_load_b64 v[4:5], v2, s[0:1]
	s_wait_xcnt 0x0
	s_movk_i32 s0, 0x64
	s_branch .LBB35_2
.LBB35_1:                               ;   in Loop: Header=BB35_2 Depth=1
	s_or_b32 exec_lo, exec_lo, s1
	s_add_co_i32 s0, s0, -1
	s_delay_alu instid0(SALU_CYCLE_1)
	s_cmp_lg_u32 s0, 0
	s_barrier_signal -1
	s_barrier_wait -1
	s_cbranch_scc0 .LBB35_4
.LBB35_2:                               ; =>This Inner Loop Header: Depth=1
	s_wait_loadcnt 0x0
	v_lshrrev_b32_e32 v6, 24, v5
	v_perm_b32 v5, v4, v5, 0x2010007
	v_perm_b32 v4, v4, v4, 0x6050404
	ds_store_b8 v0, v6
	s_wait_dscnt 0x0
	s_barrier_signal -1
	s_barrier_wait -1
	s_and_saveexec_b32 s1, vcc_lo
	s_cbranch_execz .LBB35_1
; %bb.3:                                ;   in Loop: Header=BB35_2 Depth=1
	ds_load_u8 v6, v1
	s_wait_dscnt 0x0
	v_perm_b32 v4, v6, v4, 0x3020104
	s_branch .LBB35_1
.LBB35_4:
	v_add_nc_u64_e32 v[0:1], s[2:3], v[2:3]
	global_store_b64 v[0:1], v[4:5], off
	s_endpgm
	.section	.rodata,"a",@progbits
	.p2align	6, 0x0
	.amdhsa_kernel _Z6kernelI2upaLj256ELj8ELj100EEvPKT0_PS1_
		.amdhsa_group_segment_fixed_size 256
		.amdhsa_private_segment_fixed_size 0
		.amdhsa_kernarg_size 16
		.amdhsa_user_sgpr_count 2
		.amdhsa_user_sgpr_dispatch_ptr 0
		.amdhsa_user_sgpr_queue_ptr 0
		.amdhsa_user_sgpr_kernarg_segment_ptr 1
		.amdhsa_user_sgpr_dispatch_id 0
		.amdhsa_user_sgpr_kernarg_preload_length 0
		.amdhsa_user_sgpr_kernarg_preload_offset 0
		.amdhsa_user_sgpr_private_segment_size 0
		.amdhsa_wavefront_size32 1
		.amdhsa_uses_dynamic_stack 0
		.amdhsa_enable_private_segment 0
		.amdhsa_system_sgpr_workgroup_id_x 1
		.amdhsa_system_sgpr_workgroup_id_y 0
		.amdhsa_system_sgpr_workgroup_id_z 0
		.amdhsa_system_sgpr_workgroup_info 0
		.amdhsa_system_vgpr_workitem_id 0
		.amdhsa_next_free_vgpr 7
		.amdhsa_next_free_sgpr 7
		.amdhsa_named_barrier_count 0
		.amdhsa_reserve_vcc 1
		.amdhsa_float_round_mode_32 0
		.amdhsa_float_round_mode_16_64 0
		.amdhsa_float_denorm_mode_32 3
		.amdhsa_float_denorm_mode_16_64 3
		.amdhsa_fp16_overflow 0
		.amdhsa_memory_ordered 1
		.amdhsa_forward_progress 1
		.amdhsa_inst_pref_size 2
		.amdhsa_round_robin_scheduling 0
		.amdhsa_exception_fp_ieee_invalid_op 0
		.amdhsa_exception_fp_denorm_src 0
		.amdhsa_exception_fp_ieee_div_zero 0
		.amdhsa_exception_fp_ieee_overflow 0
		.amdhsa_exception_fp_ieee_underflow 0
		.amdhsa_exception_fp_ieee_inexact 0
		.amdhsa_exception_int_div_zero 0
	.end_amdhsa_kernel
	.section	.text._Z6kernelI2upaLj256ELj8ELj100EEvPKT0_PS1_,"axG",@progbits,_Z6kernelI2upaLj256ELj8ELj100EEvPKT0_PS1_,comdat
.Lfunc_end35:
	.size	_Z6kernelI2upaLj256ELj8ELj100EEvPKT0_PS1_, .Lfunc_end35-_Z6kernelI2upaLj256ELj8ELj100EEvPKT0_PS1_
                                        ; -- End function
	.set _Z6kernelI2upaLj256ELj8ELj100EEvPKT0_PS1_.num_vgpr, 7
	.set _Z6kernelI2upaLj256ELj8ELj100EEvPKT0_PS1_.num_agpr, 0
	.set _Z6kernelI2upaLj256ELj8ELj100EEvPKT0_PS1_.numbered_sgpr, 7
	.set _Z6kernelI2upaLj256ELj8ELj100EEvPKT0_PS1_.num_named_barrier, 0
	.set _Z6kernelI2upaLj256ELj8ELj100EEvPKT0_PS1_.private_seg_size, 0
	.set _Z6kernelI2upaLj256ELj8ELj100EEvPKT0_PS1_.uses_vcc, 1
	.set _Z6kernelI2upaLj256ELj8ELj100EEvPKT0_PS1_.uses_flat_scratch, 0
	.set _Z6kernelI2upaLj256ELj8ELj100EEvPKT0_PS1_.has_dyn_sized_stack, 0
	.set _Z6kernelI2upaLj256ELj8ELj100EEvPKT0_PS1_.has_recursion, 0
	.set _Z6kernelI2upaLj256ELj8ELj100EEvPKT0_PS1_.has_indirect_call, 0
	.section	.AMDGPU.csdata,"",@progbits
; Kernel info:
; codeLenInByte = 240
; TotalNumSgprs: 9
; NumVgprs: 7
; ScratchSize: 0
; MemoryBound: 0
; FloatMode: 240
; IeeeMode: 1
; LDSByteSize: 256 bytes/workgroup (compile time only)
; SGPRBlocks: 0
; VGPRBlocks: 0
; NumSGPRsForWavesPerEU: 9
; NumVGPRsForWavesPerEU: 7
; NamedBarCnt: 0
; Occupancy: 16
; WaveLimiterHint : 0
; COMPUTE_PGM_RSRC2:SCRATCH_EN: 0
; COMPUTE_PGM_RSRC2:USER_SGPR: 2
; COMPUTE_PGM_RSRC2:TRAP_HANDLER: 0
; COMPUTE_PGM_RSRC2:TGID_X_EN: 1
; COMPUTE_PGM_RSRC2:TGID_Y_EN: 0
; COMPUTE_PGM_RSRC2:TGID_Z_EN: 0
; COMPUTE_PGM_RSRC2:TIDIG_COMP_CNT: 0
	.section	.text._Z6kernelI2upaLj256ELj16ELj100EEvPKT0_PS1_,"axG",@progbits,_Z6kernelI2upaLj256ELj16ELj100EEvPKT0_PS1_,comdat
	.protected	_Z6kernelI2upaLj256ELj16ELj100EEvPKT0_PS1_ ; -- Begin function _Z6kernelI2upaLj256ELj16ELj100EEvPKT0_PS1_
	.globl	_Z6kernelI2upaLj256ELj16ELj100EEvPKT0_PS1_
	.p2align	8
	.type	_Z6kernelI2upaLj256ELj16ELj100EEvPKT0_PS1_,@function
_Z6kernelI2upaLj256ELj16ELj100EEvPKT0_PS1_: ; @_Z6kernelI2upaLj256ELj16ELj100EEvPKT0_PS1_
; %bb.0:
	s_load_b128 s[0:3], s[0:1], 0x0
	s_bfe_u32 s4, ttmp6, 0x4000c
	s_and_b32 s5, ttmp6, 15
	s_add_co_i32 s4, s4, 1
	s_getreg_b32 s6, hwreg(HW_REG_IB_STS2, 6, 4)
	s_mul_i32 s4, ttmp9, s4
	v_dual_lshlrev_b32 v1, 4, v0 :: v_dual_mov_b32 v7, 0
	s_add_co_i32 s5, s5, s4
	s_cmp_eq_u32 s6, 0
	v_cmp_ne_u32_e32 vcc_lo, 0, v0
	s_cselect_b32 s4, ttmp9, s5
	s_delay_alu instid0(SALU_CYCLE_1)
	v_lshl_or_b32 v6, s4, 12, v1
	v_add_nc_u32_e32 v1, -1, v0
	s_wait_kmcnt 0x0
	global_load_b128 v[2:5], v6, s[0:1]
	s_wait_xcnt 0x0
	s_movk_i32 s0, 0x64
	s_branch .LBB36_2
.LBB36_1:                               ;   in Loop: Header=BB36_2 Depth=1
	s_or_b32 exec_lo, exec_lo, s1
	s_add_co_i32 s0, s0, -1
	s_delay_alu instid0(SALU_CYCLE_1)
	s_cmp_lg_u32 s0, 0
	s_barrier_signal -1
	s_barrier_wait -1
	s_cbranch_scc0 .LBB36_4
.LBB36_2:                               ; =>This Inner Loop Header: Depth=1
	s_wait_loadcnt 0x0
	v_lshrrev_b32_e32 v8, 24, v5
	v_perm_b32 v5, v4, v5, 0x2010007
	v_perm_b32 v4, v3, v4, 0x2010007
	;; [unrolled: 1-line block ×4, first 2 shown]
	ds_store_b8 v0, v8
	s_wait_dscnt 0x0
	s_barrier_signal -1
	s_barrier_wait -1
	s_and_saveexec_b32 s1, vcc_lo
	s_cbranch_execz .LBB36_1
; %bb.3:                                ;   in Loop: Header=BB36_2 Depth=1
	ds_load_u8 v8, v1
	s_wait_dscnt 0x0
	v_perm_b32 v2, v8, v2, 0x3020104
	s_branch .LBB36_1
.LBB36_4:
	v_add_nc_u64_e32 v[0:1], s[2:3], v[6:7]
	global_store_b128 v[0:1], v[2:5], off
	s_endpgm
	.section	.rodata,"a",@progbits
	.p2align	6, 0x0
	.amdhsa_kernel _Z6kernelI2upaLj256ELj16ELj100EEvPKT0_PS1_
		.amdhsa_group_segment_fixed_size 256
		.amdhsa_private_segment_fixed_size 0
		.amdhsa_kernarg_size 16
		.amdhsa_user_sgpr_count 2
		.amdhsa_user_sgpr_dispatch_ptr 0
		.amdhsa_user_sgpr_queue_ptr 0
		.amdhsa_user_sgpr_kernarg_segment_ptr 1
		.amdhsa_user_sgpr_dispatch_id 0
		.amdhsa_user_sgpr_kernarg_preload_length 0
		.amdhsa_user_sgpr_kernarg_preload_offset 0
		.amdhsa_user_sgpr_private_segment_size 0
		.amdhsa_wavefront_size32 1
		.amdhsa_uses_dynamic_stack 0
		.amdhsa_enable_private_segment 0
		.amdhsa_system_sgpr_workgroup_id_x 1
		.amdhsa_system_sgpr_workgroup_id_y 0
		.amdhsa_system_sgpr_workgroup_id_z 0
		.amdhsa_system_sgpr_workgroup_info 0
		.amdhsa_system_vgpr_workitem_id 0
		.amdhsa_next_free_vgpr 9
		.amdhsa_next_free_sgpr 7
		.amdhsa_named_barrier_count 0
		.amdhsa_reserve_vcc 1
		.amdhsa_float_round_mode_32 0
		.amdhsa_float_round_mode_16_64 0
		.amdhsa_float_denorm_mode_32 3
		.amdhsa_float_denorm_mode_16_64 3
		.amdhsa_fp16_overflow 0
		.amdhsa_memory_ordered 1
		.amdhsa_forward_progress 1
		.amdhsa_inst_pref_size 3
		.amdhsa_round_robin_scheduling 0
		.amdhsa_exception_fp_ieee_invalid_op 0
		.amdhsa_exception_fp_denorm_src 0
		.amdhsa_exception_fp_ieee_div_zero 0
		.amdhsa_exception_fp_ieee_overflow 0
		.amdhsa_exception_fp_ieee_underflow 0
		.amdhsa_exception_fp_ieee_inexact 0
		.amdhsa_exception_int_div_zero 0
	.end_amdhsa_kernel
	.section	.text._Z6kernelI2upaLj256ELj16ELj100EEvPKT0_PS1_,"axG",@progbits,_Z6kernelI2upaLj256ELj16ELj100EEvPKT0_PS1_,comdat
.Lfunc_end36:
	.size	_Z6kernelI2upaLj256ELj16ELj100EEvPKT0_PS1_, .Lfunc_end36-_Z6kernelI2upaLj256ELj16ELj100EEvPKT0_PS1_
                                        ; -- End function
	.set _Z6kernelI2upaLj256ELj16ELj100EEvPKT0_PS1_.num_vgpr, 9
	.set _Z6kernelI2upaLj256ELj16ELj100EEvPKT0_PS1_.num_agpr, 0
	.set _Z6kernelI2upaLj256ELj16ELj100EEvPKT0_PS1_.numbered_sgpr, 7
	.set _Z6kernelI2upaLj256ELj16ELj100EEvPKT0_PS1_.num_named_barrier, 0
	.set _Z6kernelI2upaLj256ELj16ELj100EEvPKT0_PS1_.private_seg_size, 0
	.set _Z6kernelI2upaLj256ELj16ELj100EEvPKT0_PS1_.uses_vcc, 1
	.set _Z6kernelI2upaLj256ELj16ELj100EEvPKT0_PS1_.uses_flat_scratch, 0
	.set _Z6kernelI2upaLj256ELj16ELj100EEvPKT0_PS1_.has_dyn_sized_stack, 0
	.set _Z6kernelI2upaLj256ELj16ELj100EEvPKT0_PS1_.has_recursion, 0
	.set _Z6kernelI2upaLj256ELj16ELj100EEvPKT0_PS1_.has_indirect_call, 0
	.section	.AMDGPU.csdata,"",@progbits
; Kernel info:
; codeLenInByte = 264
; TotalNumSgprs: 9
; NumVgprs: 9
; ScratchSize: 0
; MemoryBound: 0
; FloatMode: 240
; IeeeMode: 1
; LDSByteSize: 256 bytes/workgroup (compile time only)
; SGPRBlocks: 0
; VGPRBlocks: 0
; NumSGPRsForWavesPerEU: 9
; NumVGPRsForWavesPerEU: 9
; NamedBarCnt: 0
; Occupancy: 16
; WaveLimiterHint : 0
; COMPUTE_PGM_RSRC2:SCRATCH_EN: 0
; COMPUTE_PGM_RSRC2:USER_SGPR: 2
; COMPUTE_PGM_RSRC2:TRAP_HANDLER: 0
; COMPUTE_PGM_RSRC2:TGID_X_EN: 1
; COMPUTE_PGM_RSRC2:TGID_Y_EN: 0
; COMPUTE_PGM_RSRC2:TGID_Z_EN: 0
; COMPUTE_PGM_RSRC2:TIDIG_COMP_CNT: 0
	.section	.text._Z6kernelI2upaLj256ELj32ELj100EEvPKT0_PS1_,"axG",@progbits,_Z6kernelI2upaLj256ELj32ELj100EEvPKT0_PS1_,comdat
	.protected	_Z6kernelI2upaLj256ELj32ELj100EEvPKT0_PS1_ ; -- Begin function _Z6kernelI2upaLj256ELj32ELj100EEvPKT0_PS1_
	.globl	_Z6kernelI2upaLj256ELj32ELj100EEvPKT0_PS1_
	.p2align	8
	.type	_Z6kernelI2upaLj256ELj32ELj100EEvPKT0_PS1_,@function
_Z6kernelI2upaLj256ELj32ELj100EEvPKT0_PS1_: ; @_Z6kernelI2upaLj256ELj32ELj100EEvPKT0_PS1_
; %bb.0:
	s_load_b128 s[0:3], s[0:1], 0x0
	s_bfe_u32 s4, ttmp6, 0x4000c
	s_and_b32 s5, ttmp6, 15
	s_add_co_i32 s4, s4, 1
	s_getreg_b32 s6, hwreg(HW_REG_IB_STS2, 6, 4)
	s_mul_i32 s4, ttmp9, s4
	v_dual_lshlrev_b32 v1, 5, v0 :: v_dual_mov_b32 v11, 0
	s_add_co_i32 s5, s5, s4
	s_cmp_eq_u32 s6, 0
	v_cmp_ne_u32_e32 vcc_lo, 0, v0
	s_cselect_b32 s4, ttmp9, s5
	s_delay_alu instid0(SALU_CYCLE_1)
	v_lshl_or_b32 v10, s4, 13, v1
	v_add_nc_u32_e32 v1, -1, v0
	s_wait_kmcnt 0x0
	s_clause 0x1
	global_load_b128 v[6:9], v10, s[0:1]
	global_load_b128 v[2:5], v10, s[0:1] offset:16
	s_wait_xcnt 0x0
	s_movk_i32 s0, 0x64
	s_branch .LBB37_2
.LBB37_1:                               ;   in Loop: Header=BB37_2 Depth=1
	s_or_b32 exec_lo, exec_lo, s1
	s_add_co_i32 s0, s0, -1
	s_delay_alu instid0(SALU_CYCLE_1)
	s_cmp_lg_u32 s0, 0
	s_barrier_signal -1
	s_barrier_wait -1
	s_cbranch_scc0 .LBB37_4
.LBB37_2:                               ; =>This Inner Loop Header: Depth=1
	s_wait_loadcnt 0x0
	v_lshrrev_b32_e32 v12, 24, v5
	v_perm_b32 v5, v4, v5, 0x2010007
	v_perm_b32 v4, v3, v4, 0x2010007
	;; [unrolled: 1-line block ×8, first 2 shown]
	ds_store_b8 v0, v12
	s_wait_dscnt 0x0
	s_barrier_signal -1
	s_barrier_wait -1
	s_and_saveexec_b32 s1, vcc_lo
	s_cbranch_execz .LBB37_1
; %bb.3:                                ;   in Loop: Header=BB37_2 Depth=1
	ds_load_u8 v12, v1
	s_wait_dscnt 0x0
	v_perm_b32 v6, v12, v6, 0x3020104
	s_branch .LBB37_1
.LBB37_4:
	v_add_nc_u64_e32 v[0:1], s[2:3], v[10:11]
	s_clause 0x1
	global_store_b128 v[0:1], v[6:9], off
	global_store_b128 v[0:1], v[2:5], off offset:16
	s_endpgm
	.section	.rodata,"a",@progbits
	.p2align	6, 0x0
	.amdhsa_kernel _Z6kernelI2upaLj256ELj32ELj100EEvPKT0_PS1_
		.amdhsa_group_segment_fixed_size 256
		.amdhsa_private_segment_fixed_size 0
		.amdhsa_kernarg_size 16
		.amdhsa_user_sgpr_count 2
		.amdhsa_user_sgpr_dispatch_ptr 0
		.amdhsa_user_sgpr_queue_ptr 0
		.amdhsa_user_sgpr_kernarg_segment_ptr 1
		.amdhsa_user_sgpr_dispatch_id 0
		.amdhsa_user_sgpr_kernarg_preload_length 0
		.amdhsa_user_sgpr_kernarg_preload_offset 0
		.amdhsa_user_sgpr_private_segment_size 0
		.amdhsa_wavefront_size32 1
		.amdhsa_uses_dynamic_stack 0
		.amdhsa_enable_private_segment 0
		.amdhsa_system_sgpr_workgroup_id_x 1
		.amdhsa_system_sgpr_workgroup_id_y 0
		.amdhsa_system_sgpr_workgroup_id_z 0
		.amdhsa_system_sgpr_workgroup_info 0
		.amdhsa_system_vgpr_workitem_id 0
		.amdhsa_next_free_vgpr 13
		.amdhsa_next_free_sgpr 7
		.amdhsa_named_barrier_count 0
		.amdhsa_reserve_vcc 1
		.amdhsa_float_round_mode_32 0
		.amdhsa_float_round_mode_16_64 0
		.amdhsa_float_denorm_mode_32 3
		.amdhsa_float_denorm_mode_16_64 3
		.amdhsa_fp16_overflow 0
		.amdhsa_memory_ordered 1
		.amdhsa_forward_progress 1
		.amdhsa_inst_pref_size 3
		.amdhsa_round_robin_scheduling 0
		.amdhsa_exception_fp_ieee_invalid_op 0
		.amdhsa_exception_fp_denorm_src 0
		.amdhsa_exception_fp_ieee_div_zero 0
		.amdhsa_exception_fp_ieee_overflow 0
		.amdhsa_exception_fp_ieee_underflow 0
		.amdhsa_exception_fp_ieee_inexact 0
		.amdhsa_exception_int_div_zero 0
	.end_amdhsa_kernel
	.section	.text._Z6kernelI2upaLj256ELj32ELj100EEvPKT0_PS1_,"axG",@progbits,_Z6kernelI2upaLj256ELj32ELj100EEvPKT0_PS1_,comdat
.Lfunc_end37:
	.size	_Z6kernelI2upaLj256ELj32ELj100EEvPKT0_PS1_, .Lfunc_end37-_Z6kernelI2upaLj256ELj32ELj100EEvPKT0_PS1_
                                        ; -- End function
	.set _Z6kernelI2upaLj256ELj32ELj100EEvPKT0_PS1_.num_vgpr, 13
	.set _Z6kernelI2upaLj256ELj32ELj100EEvPKT0_PS1_.num_agpr, 0
	.set _Z6kernelI2upaLj256ELj32ELj100EEvPKT0_PS1_.numbered_sgpr, 7
	.set _Z6kernelI2upaLj256ELj32ELj100EEvPKT0_PS1_.num_named_barrier, 0
	.set _Z6kernelI2upaLj256ELj32ELj100EEvPKT0_PS1_.private_seg_size, 0
	.set _Z6kernelI2upaLj256ELj32ELj100EEvPKT0_PS1_.uses_vcc, 1
	.set _Z6kernelI2upaLj256ELj32ELj100EEvPKT0_PS1_.uses_flat_scratch, 0
	.set _Z6kernelI2upaLj256ELj32ELj100EEvPKT0_PS1_.has_dyn_sized_stack, 0
	.set _Z6kernelI2upaLj256ELj32ELj100EEvPKT0_PS1_.has_recursion, 0
	.set _Z6kernelI2upaLj256ELj32ELj100EEvPKT0_PS1_.has_indirect_call, 0
	.section	.AMDGPU.csdata,"",@progbits
; Kernel info:
; codeLenInByte = 344
; TotalNumSgprs: 9
; NumVgprs: 13
; ScratchSize: 0
; MemoryBound: 0
; FloatMode: 240
; IeeeMode: 1
; LDSByteSize: 256 bytes/workgroup (compile time only)
; SGPRBlocks: 0
; VGPRBlocks: 0
; NumSGPRsForWavesPerEU: 9
; NumVGPRsForWavesPerEU: 13
; NamedBarCnt: 0
; Occupancy: 16
; WaveLimiterHint : 0
; COMPUTE_PGM_RSRC2:SCRATCH_EN: 0
; COMPUTE_PGM_RSRC2:USER_SGPR: 2
; COMPUTE_PGM_RSRC2:TRAP_HANDLER: 0
; COMPUTE_PGM_RSRC2:TGID_X_EN: 1
; COMPUTE_PGM_RSRC2:TGID_Y_EN: 0
; COMPUTE_PGM_RSRC2:TGID_Z_EN: 0
; COMPUTE_PGM_RSRC2:TIDIG_COMP_CNT: 0
	.section	.text._Z6kernelI2upxLj256ELj1ELj100EEvPKT0_PS1_,"axG",@progbits,_Z6kernelI2upxLj256ELj1ELj100EEvPKT0_PS1_,comdat
	.protected	_Z6kernelI2upxLj256ELj1ELj100EEvPKT0_PS1_ ; -- Begin function _Z6kernelI2upxLj256ELj1ELj100EEvPKT0_PS1_
	.globl	_Z6kernelI2upxLj256ELj1ELj100EEvPKT0_PS1_
	.p2align	8
	.type	_Z6kernelI2upxLj256ELj1ELj100EEvPKT0_PS1_,@function
_Z6kernelI2upxLj256ELj1ELj100EEvPKT0_PS1_: ; @_Z6kernelI2upxLj256ELj1ELj100EEvPKT0_PS1_
; %bb.0:
	s_load_b128 s[0:3], s[0:1], 0x0
	s_bfe_u32 s4, ttmp6, 0x4000c
	s_and_b32 s5, ttmp6, 15
	s_add_co_i32 s4, s4, 1
	s_getreg_b32 s6, hwreg(HW_REG_IB_STS2, 6, 4)
	s_mul_i32 s4, ttmp9, s4
	v_dual_lshlrev_b32 v1, 3, v0 :: v_dual_mov_b32 v3, 0
	s_add_co_i32 s5, s5, s4
	s_cmp_eq_u32 s6, 0
	v_cmp_ne_u32_e32 vcc_lo, 0, v0
	s_cselect_b32 s4, ttmp9, s5
	s_delay_alu instid0(SALU_CYCLE_1)
	v_lshl_or_b32 v2, s4, 8, v0
	v_add_nc_u32_e32 v0, -8, v1
	s_wait_kmcnt 0x0
	global_load_b64 v[4:5], v2, s[0:1] scale_offset
	s_wait_xcnt 0x0
	s_movk_i32 s0, 0x64
	s_branch .LBB38_2
.LBB38_1:                               ;   in Loop: Header=BB38_2 Depth=1
	s_or_b32 exec_lo, exec_lo, s1
	s_add_co_i32 s0, s0, -1
	s_wait_dscnt 0x0
	s_cmp_lg_u32 s0, 0
	s_barrier_signal -1
	s_barrier_wait -1
	s_cbranch_scc0 .LBB38_4
.LBB38_2:                               ; =>This Inner Loop Header: Depth=1
	s_wait_loadcnt 0x0
	ds_store_b64 v1, v[4:5]
	s_wait_dscnt 0x0
	s_barrier_signal -1
	s_barrier_wait -1
	s_and_saveexec_b32 s1, vcc_lo
	s_cbranch_execz .LBB38_1
; %bb.3:                                ;   in Loop: Header=BB38_2 Depth=1
	ds_load_b64 v[4:5], v0
	s_branch .LBB38_1
.LBB38_4:
	v_lshl_add_u64 v[0:1], v[2:3], 3, s[2:3]
	global_store_b64 v[0:1], v[4:5], off
	s_endpgm
	.section	.rodata,"a",@progbits
	.p2align	6, 0x0
	.amdhsa_kernel _Z6kernelI2upxLj256ELj1ELj100EEvPKT0_PS1_
		.amdhsa_group_segment_fixed_size 2048
		.amdhsa_private_segment_fixed_size 0
		.amdhsa_kernarg_size 16
		.amdhsa_user_sgpr_count 2
		.amdhsa_user_sgpr_dispatch_ptr 0
		.amdhsa_user_sgpr_queue_ptr 0
		.amdhsa_user_sgpr_kernarg_segment_ptr 1
		.amdhsa_user_sgpr_dispatch_id 0
		.amdhsa_user_sgpr_kernarg_preload_length 0
		.amdhsa_user_sgpr_kernarg_preload_offset 0
		.amdhsa_user_sgpr_private_segment_size 0
		.amdhsa_wavefront_size32 1
		.amdhsa_uses_dynamic_stack 0
		.amdhsa_enable_private_segment 0
		.amdhsa_system_sgpr_workgroup_id_x 1
		.amdhsa_system_sgpr_workgroup_id_y 0
		.amdhsa_system_sgpr_workgroup_id_z 0
		.amdhsa_system_sgpr_workgroup_info 0
		.amdhsa_system_vgpr_workitem_id 0
		.amdhsa_next_free_vgpr 6
		.amdhsa_next_free_sgpr 7
		.amdhsa_named_barrier_count 0
		.amdhsa_reserve_vcc 1
		.amdhsa_float_round_mode_32 0
		.amdhsa_float_round_mode_16_64 0
		.amdhsa_float_denorm_mode_32 3
		.amdhsa_float_denorm_mode_16_64 3
		.amdhsa_fp16_overflow 0
		.amdhsa_memory_ordered 1
		.amdhsa_forward_progress 1
		.amdhsa_inst_pref_size 2
		.amdhsa_round_robin_scheduling 0
		.amdhsa_exception_fp_ieee_invalid_op 0
		.amdhsa_exception_fp_denorm_src 0
		.amdhsa_exception_fp_ieee_div_zero 0
		.amdhsa_exception_fp_ieee_overflow 0
		.amdhsa_exception_fp_ieee_underflow 0
		.amdhsa_exception_fp_ieee_inexact 0
		.amdhsa_exception_int_div_zero 0
	.end_amdhsa_kernel
	.section	.text._Z6kernelI2upxLj256ELj1ELj100EEvPKT0_PS1_,"axG",@progbits,_Z6kernelI2upxLj256ELj1ELj100EEvPKT0_PS1_,comdat
.Lfunc_end38:
	.size	_Z6kernelI2upxLj256ELj1ELj100EEvPKT0_PS1_, .Lfunc_end38-_Z6kernelI2upxLj256ELj1ELj100EEvPKT0_PS1_
                                        ; -- End function
	.set _Z6kernelI2upxLj256ELj1ELj100EEvPKT0_PS1_.num_vgpr, 6
	.set _Z6kernelI2upxLj256ELj1ELj100EEvPKT0_PS1_.num_agpr, 0
	.set _Z6kernelI2upxLj256ELj1ELj100EEvPKT0_PS1_.numbered_sgpr, 7
	.set _Z6kernelI2upxLj256ELj1ELj100EEvPKT0_PS1_.num_named_barrier, 0
	.set _Z6kernelI2upxLj256ELj1ELj100EEvPKT0_PS1_.private_seg_size, 0
	.set _Z6kernelI2upxLj256ELj1ELj100EEvPKT0_PS1_.uses_vcc, 1
	.set _Z6kernelI2upxLj256ELj1ELj100EEvPKT0_PS1_.uses_flat_scratch, 0
	.set _Z6kernelI2upxLj256ELj1ELj100EEvPKT0_PS1_.has_dyn_sized_stack, 0
	.set _Z6kernelI2upxLj256ELj1ELj100EEvPKT0_PS1_.has_recursion, 0
	.set _Z6kernelI2upxLj256ELj1ELj100EEvPKT0_PS1_.has_indirect_call, 0
	.section	.AMDGPU.csdata,"",@progbits
; Kernel info:
; codeLenInByte = 200
; TotalNumSgprs: 9
; NumVgprs: 6
; ScratchSize: 0
; MemoryBound: 0
; FloatMode: 240
; IeeeMode: 1
; LDSByteSize: 2048 bytes/workgroup (compile time only)
; SGPRBlocks: 0
; VGPRBlocks: 0
; NumSGPRsForWavesPerEU: 9
; NumVGPRsForWavesPerEU: 6
; NamedBarCnt: 0
; Occupancy: 16
; WaveLimiterHint : 0
; COMPUTE_PGM_RSRC2:SCRATCH_EN: 0
; COMPUTE_PGM_RSRC2:USER_SGPR: 2
; COMPUTE_PGM_RSRC2:TRAP_HANDLER: 0
; COMPUTE_PGM_RSRC2:TGID_X_EN: 1
; COMPUTE_PGM_RSRC2:TGID_Y_EN: 0
; COMPUTE_PGM_RSRC2:TGID_Z_EN: 0
; COMPUTE_PGM_RSRC2:TIDIG_COMP_CNT: 0
	.section	.text._Z6kernelI2upxLj256ELj3ELj100EEvPKT0_PS1_,"axG",@progbits,_Z6kernelI2upxLj256ELj3ELj100EEvPKT0_PS1_,comdat
	.protected	_Z6kernelI2upxLj256ELj3ELj100EEvPKT0_PS1_ ; -- Begin function _Z6kernelI2upxLj256ELj3ELj100EEvPKT0_PS1_
	.globl	_Z6kernelI2upxLj256ELj3ELj100EEvPKT0_PS1_
	.p2align	8
	.type	_Z6kernelI2upxLj256ELj3ELj100EEvPKT0_PS1_,@function
_Z6kernelI2upxLj256ELj3ELj100EEvPKT0_PS1_: ; @_Z6kernelI2upxLj256ELj3ELj100EEvPKT0_PS1_
; %bb.0:
	s_bfe_u32 s4, ttmp6, 0x4000c
	s_and_b32 s5, ttmp6, 15
	s_add_co_i32 s4, s4, 1
	s_load_b128 s[0:3], s[0:1], 0x0
	s_mul_i32 s4, ttmp9, s4
	s_getreg_b32 s6, hwreg(HW_REG_IB_STS2, 6, 4)
	s_add_co_i32 s5, s5, s4
	s_cmp_eq_u32 s6, 0
	v_dual_mov_b32 v3, 0 :: v_dual_lshlrev_b32 v14, 3, v0
	s_cselect_b32 s4, ttmp9, s5
	v_cmp_ne_u32_e32 vcc_lo, 0, v0
	v_lshl_or_b32 v1, s4, 8, v0
	s_delay_alu instid0(VALU_DEP_3) | instskip(SKIP_1) | instid1(VALU_DEP_3)
	v_dual_mov_b32 v5, v3 :: v_dual_mov_b32 v7, v3
	v_add_nc_u32_e32 v15, -8, v14
	v_lshl_add_u32 v2, v1, 1, v1
	s_delay_alu instid0(VALU_DEP_1)
	v_dual_add_nc_u32 v4, 1, v2 :: v_dual_add_nc_u32 v6, 2, v2
	s_wait_kmcnt 0x0
	s_clause 0x2
	global_load_b64 v[10:11], v2, s[0:1] scale_offset
	global_load_b64 v[8:9], v4, s[0:1] scale_offset
	global_load_b64 v[12:13], v6, s[0:1] scale_offset
	s_wait_xcnt 0x0
	s_movk_i32 s0, 0x64
.LBB39_1:                               ; =>This Inner Loop Header: Depth=1
	s_wait_loadcnt 0x1
	v_mov_b64_e32 v[0:1], v[8:9]
	v_mov_b64_e32 v[8:9], v[10:11]
	s_wait_loadcnt 0x0
	ds_store_b64 v14, v[12:13]
	s_wait_dscnt 0x0
	s_barrier_signal -1
	s_barrier_wait -1
	s_and_saveexec_b32 s1, vcc_lo
; %bb.2:                                ;   in Loop: Header=BB39_1 Depth=1
	ds_load_b64 v[10:11], v15
; %bb.3:                                ;   in Loop: Header=BB39_1 Depth=1
	s_or_b32 exec_lo, exec_lo, s1
	s_add_co_i32 s0, s0, -1
	s_wait_dscnt 0x0
	s_cmp_lg_u32 s0, 0
	s_barrier_signal -1
	s_barrier_wait -1
	s_cbranch_scc0 .LBB39_5
; %bb.4:                                ;   in Loop: Header=BB39_1 Depth=1
	v_mov_b64_e32 v[12:13], v[0:1]
	s_branch .LBB39_1
.LBB39_5:
	v_lshl_add_u64 v[2:3], v[2:3], 3, s[2:3]
	v_lshl_add_u64 v[4:5], v[4:5], 3, s[2:3]
	;; [unrolled: 1-line block ×3, first 2 shown]
	s_clause 0x2
	global_store_b64 v[2:3], v[10:11], off
	global_store_b64 v[4:5], v[8:9], off
	;; [unrolled: 1-line block ×3, first 2 shown]
	s_endpgm
	.section	.rodata,"a",@progbits
	.p2align	6, 0x0
	.amdhsa_kernel _Z6kernelI2upxLj256ELj3ELj100EEvPKT0_PS1_
		.amdhsa_group_segment_fixed_size 2048
		.amdhsa_private_segment_fixed_size 0
		.amdhsa_kernarg_size 16
		.amdhsa_user_sgpr_count 2
		.amdhsa_user_sgpr_dispatch_ptr 0
		.amdhsa_user_sgpr_queue_ptr 0
		.amdhsa_user_sgpr_kernarg_segment_ptr 1
		.amdhsa_user_sgpr_dispatch_id 0
		.amdhsa_user_sgpr_kernarg_preload_length 0
		.amdhsa_user_sgpr_kernarg_preload_offset 0
		.amdhsa_user_sgpr_private_segment_size 0
		.amdhsa_wavefront_size32 1
		.amdhsa_uses_dynamic_stack 0
		.amdhsa_enable_private_segment 0
		.amdhsa_system_sgpr_workgroup_id_x 1
		.amdhsa_system_sgpr_workgroup_id_y 0
		.amdhsa_system_sgpr_workgroup_id_z 0
		.amdhsa_system_sgpr_workgroup_info 0
		.amdhsa_system_vgpr_workitem_id 0
		.amdhsa_next_free_vgpr 16
		.amdhsa_next_free_sgpr 7
		.amdhsa_named_barrier_count 0
		.amdhsa_reserve_vcc 1
		.amdhsa_float_round_mode_32 0
		.amdhsa_float_round_mode_16_64 0
		.amdhsa_float_denorm_mode_32 3
		.amdhsa_float_denorm_mode_16_64 3
		.amdhsa_fp16_overflow 0
		.amdhsa_memory_ordered 1
		.amdhsa_forward_progress 1
		.amdhsa_inst_pref_size 3
		.amdhsa_round_robin_scheduling 0
		.amdhsa_exception_fp_ieee_invalid_op 0
		.amdhsa_exception_fp_denorm_src 0
		.amdhsa_exception_fp_ieee_div_zero 0
		.amdhsa_exception_fp_ieee_overflow 0
		.amdhsa_exception_fp_ieee_underflow 0
		.amdhsa_exception_fp_ieee_inexact 0
		.amdhsa_exception_int_div_zero 0
	.end_amdhsa_kernel
	.section	.text._Z6kernelI2upxLj256ELj3ELj100EEvPKT0_PS1_,"axG",@progbits,_Z6kernelI2upxLj256ELj3ELj100EEvPKT0_PS1_,comdat
.Lfunc_end39:
	.size	_Z6kernelI2upxLj256ELj3ELj100EEvPKT0_PS1_, .Lfunc_end39-_Z6kernelI2upxLj256ELj3ELj100EEvPKT0_PS1_
                                        ; -- End function
	.set _Z6kernelI2upxLj256ELj3ELj100EEvPKT0_PS1_.num_vgpr, 16
	.set _Z6kernelI2upxLj256ELj3ELj100EEvPKT0_PS1_.num_agpr, 0
	.set _Z6kernelI2upxLj256ELj3ELj100EEvPKT0_PS1_.numbered_sgpr, 7
	.set _Z6kernelI2upxLj256ELj3ELj100EEvPKT0_PS1_.num_named_barrier, 0
	.set _Z6kernelI2upxLj256ELj3ELj100EEvPKT0_PS1_.private_seg_size, 0
	.set _Z6kernelI2upxLj256ELj3ELj100EEvPKT0_PS1_.uses_vcc, 1
	.set _Z6kernelI2upxLj256ELj3ELj100EEvPKT0_PS1_.uses_flat_scratch, 0
	.set _Z6kernelI2upxLj256ELj3ELj100EEvPKT0_PS1_.has_dyn_sized_stack, 0
	.set _Z6kernelI2upxLj256ELj3ELj100EEvPKT0_PS1_.has_recursion, 0
	.set _Z6kernelI2upxLj256ELj3ELj100EEvPKT0_PS1_.has_indirect_call, 0
	.section	.AMDGPU.csdata,"",@progbits
; Kernel info:
; codeLenInByte = 312
; TotalNumSgprs: 9
; NumVgprs: 16
; ScratchSize: 0
; MemoryBound: 0
; FloatMode: 240
; IeeeMode: 1
; LDSByteSize: 2048 bytes/workgroup (compile time only)
; SGPRBlocks: 0
; VGPRBlocks: 0
; NumSGPRsForWavesPerEU: 9
; NumVGPRsForWavesPerEU: 16
; NamedBarCnt: 0
; Occupancy: 16
; WaveLimiterHint : 0
; COMPUTE_PGM_RSRC2:SCRATCH_EN: 0
; COMPUTE_PGM_RSRC2:USER_SGPR: 2
; COMPUTE_PGM_RSRC2:TRAP_HANDLER: 0
; COMPUTE_PGM_RSRC2:TGID_X_EN: 1
; COMPUTE_PGM_RSRC2:TGID_Y_EN: 0
; COMPUTE_PGM_RSRC2:TGID_Z_EN: 0
; COMPUTE_PGM_RSRC2:TIDIG_COMP_CNT: 0
	.section	.text._Z6kernelI2upxLj256ELj4ELj100EEvPKT0_PS1_,"axG",@progbits,_Z6kernelI2upxLj256ELj4ELj100EEvPKT0_PS1_,comdat
	.protected	_Z6kernelI2upxLj256ELj4ELj100EEvPKT0_PS1_ ; -- Begin function _Z6kernelI2upxLj256ELj4ELj100EEvPKT0_PS1_
	.globl	_Z6kernelI2upxLj256ELj4ELj100EEvPKT0_PS1_
	.p2align	8
	.type	_Z6kernelI2upxLj256ELj4ELj100EEvPKT0_PS1_,@function
_Z6kernelI2upxLj256ELj4ELj100EEvPKT0_PS1_: ; @_Z6kernelI2upxLj256ELj4ELj100EEvPKT0_PS1_
; %bb.0:
	s_load_b128 s[0:3], s[0:1], 0x0
	s_bfe_u32 s4, ttmp6, 0x4000c
	s_and_b32 s5, ttmp6, 15
	s_add_co_i32 s4, s4, 1
	s_getreg_b32 s6, hwreg(HW_REG_IB_STS2, 6, 4)
	s_mul_i32 s4, ttmp9, s4
	v_dual_lshlrev_b32 v1, 2, v0 :: v_dual_mov_b32 v11, 0
	s_add_co_i32 s5, s5, s4
	s_cmp_eq_u32 s6, 0
	v_cmp_ne_u32_e32 vcc_lo, 0, v0
	s_cselect_b32 s4, ttmp9, s5
	s_delay_alu instid0(SALU_CYCLE_1) | instskip(SKIP_1) | instid1(VALU_DEP_1)
	v_lshl_or_b32 v10, s4, 10, v1
	s_wait_kmcnt 0x0
	v_lshl_add_u64 v[12:13], v[10:11], 3, s[0:1]
	s_movk_i32 s0, 0x64
	s_clause 0x1
	global_load_b128 v[2:5], v[12:13], off offset:16
	global_load_b128 v[6:9], v[12:13], off
	s_wait_xcnt 0x0
	v_lshlrev_b32_e32 v12, 3, v0
	s_delay_alu instid0(VALU_DEP_1)
	v_add_nc_u32_e32 v13, -8, v12
.LBB40_1:                               ; =>This Inner Loop Header: Depth=1
	s_wait_loadcnt 0x1
	v_mov_b64_e32 v[0:1], v[2:3]
	s_wait_loadcnt 0x0
	v_mov_b64_e32 v[2:3], v[8:9]
	v_mov_b64_e32 v[8:9], v[6:7]
	ds_store_b64 v12, v[4:5]
	s_wait_dscnt 0x0
	s_barrier_signal -1
	s_barrier_wait -1
	s_and_saveexec_b32 s1, vcc_lo
; %bb.2:                                ;   in Loop: Header=BB40_1 Depth=1
	ds_load_b64 v[6:7], v13
; %bb.3:                                ;   in Loop: Header=BB40_1 Depth=1
	s_or_b32 exec_lo, exec_lo, s1
	s_add_co_i32 s0, s0, -1
	s_wait_dscnt 0x0
	s_cmp_lg_u32 s0, 0
	s_barrier_signal -1
	s_barrier_wait -1
	s_cbranch_scc0 .LBB40_5
; %bb.4:                                ;   in Loop: Header=BB40_1 Depth=1
	v_mov_b64_e32 v[4:5], v[0:1]
	s_branch .LBB40_1
.LBB40_5:
	v_lshl_add_u64 v[10:11], v[10:11], 3, s[2:3]
	v_dual_mov_b32 v4, v0 :: v_dual_mov_b32 v5, v1
	s_clause 0x1
	global_store_b128 v[10:11], v[6:9], off
	global_store_b128 v[10:11], v[2:5], off offset:16
	s_endpgm
	.section	.rodata,"a",@progbits
	.p2align	6, 0x0
	.amdhsa_kernel _Z6kernelI2upxLj256ELj4ELj100EEvPKT0_PS1_
		.amdhsa_group_segment_fixed_size 2048
		.amdhsa_private_segment_fixed_size 0
		.amdhsa_kernarg_size 16
		.amdhsa_user_sgpr_count 2
		.amdhsa_user_sgpr_dispatch_ptr 0
		.amdhsa_user_sgpr_queue_ptr 0
		.amdhsa_user_sgpr_kernarg_segment_ptr 1
		.amdhsa_user_sgpr_dispatch_id 0
		.amdhsa_user_sgpr_kernarg_preload_length 0
		.amdhsa_user_sgpr_kernarg_preload_offset 0
		.amdhsa_user_sgpr_private_segment_size 0
		.amdhsa_wavefront_size32 1
		.amdhsa_uses_dynamic_stack 0
		.amdhsa_enable_private_segment 0
		.amdhsa_system_sgpr_workgroup_id_x 1
		.amdhsa_system_sgpr_workgroup_id_y 0
		.amdhsa_system_sgpr_workgroup_id_z 0
		.amdhsa_system_sgpr_workgroup_info 0
		.amdhsa_system_vgpr_workitem_id 0
		.amdhsa_next_free_vgpr 14
		.amdhsa_next_free_sgpr 7
		.amdhsa_named_barrier_count 0
		.amdhsa_reserve_vcc 1
		.amdhsa_float_round_mode_32 0
		.amdhsa_float_round_mode_16_64 0
		.amdhsa_float_denorm_mode_32 3
		.amdhsa_float_denorm_mode_16_64 3
		.amdhsa_fp16_overflow 0
		.amdhsa_memory_ordered 1
		.amdhsa_forward_progress 1
		.amdhsa_inst_pref_size 3
		.amdhsa_round_robin_scheduling 0
		.amdhsa_exception_fp_ieee_invalid_op 0
		.amdhsa_exception_fp_denorm_src 0
		.amdhsa_exception_fp_ieee_div_zero 0
		.amdhsa_exception_fp_ieee_overflow 0
		.amdhsa_exception_fp_ieee_underflow 0
		.amdhsa_exception_fp_ieee_inexact 0
		.amdhsa_exception_int_div_zero 0
	.end_amdhsa_kernel
	.section	.text._Z6kernelI2upxLj256ELj4ELj100EEvPKT0_PS1_,"axG",@progbits,_Z6kernelI2upxLj256ELj4ELj100EEvPKT0_PS1_,comdat
.Lfunc_end40:
	.size	_Z6kernelI2upxLj256ELj4ELj100EEvPKT0_PS1_, .Lfunc_end40-_Z6kernelI2upxLj256ELj4ELj100EEvPKT0_PS1_
                                        ; -- End function
	.set _Z6kernelI2upxLj256ELj4ELj100EEvPKT0_PS1_.num_vgpr, 14
	.set _Z6kernelI2upxLj256ELj4ELj100EEvPKT0_PS1_.num_agpr, 0
	.set _Z6kernelI2upxLj256ELj4ELj100EEvPKT0_PS1_.numbered_sgpr, 7
	.set _Z6kernelI2upxLj256ELj4ELj100EEvPKT0_PS1_.num_named_barrier, 0
	.set _Z6kernelI2upxLj256ELj4ELj100EEvPKT0_PS1_.private_seg_size, 0
	.set _Z6kernelI2upxLj256ELj4ELj100EEvPKT0_PS1_.uses_vcc, 1
	.set _Z6kernelI2upxLj256ELj4ELj100EEvPKT0_PS1_.uses_flat_scratch, 0
	.set _Z6kernelI2upxLj256ELj4ELj100EEvPKT0_PS1_.has_dyn_sized_stack, 0
	.set _Z6kernelI2upxLj256ELj4ELj100EEvPKT0_PS1_.has_recursion, 0
	.set _Z6kernelI2upxLj256ELj4ELj100EEvPKT0_PS1_.has_indirect_call, 0
	.section	.AMDGPU.csdata,"",@progbits
; Kernel info:
; codeLenInByte = 268
; TotalNumSgprs: 9
; NumVgprs: 14
; ScratchSize: 0
; MemoryBound: 0
; FloatMode: 240
; IeeeMode: 1
; LDSByteSize: 2048 bytes/workgroup (compile time only)
; SGPRBlocks: 0
; VGPRBlocks: 0
; NumSGPRsForWavesPerEU: 9
; NumVGPRsForWavesPerEU: 14
; NamedBarCnt: 0
; Occupancy: 16
; WaveLimiterHint : 0
; COMPUTE_PGM_RSRC2:SCRATCH_EN: 0
; COMPUTE_PGM_RSRC2:USER_SGPR: 2
; COMPUTE_PGM_RSRC2:TRAP_HANDLER: 0
; COMPUTE_PGM_RSRC2:TGID_X_EN: 1
; COMPUTE_PGM_RSRC2:TGID_Y_EN: 0
; COMPUTE_PGM_RSRC2:TGID_Z_EN: 0
; COMPUTE_PGM_RSRC2:TIDIG_COMP_CNT: 0
	.section	.text._Z6kernelI2upxLj256ELj8ELj100EEvPKT0_PS1_,"axG",@progbits,_Z6kernelI2upxLj256ELj8ELj100EEvPKT0_PS1_,comdat
	.protected	_Z6kernelI2upxLj256ELj8ELj100EEvPKT0_PS1_ ; -- Begin function _Z6kernelI2upxLj256ELj8ELj100EEvPKT0_PS1_
	.globl	_Z6kernelI2upxLj256ELj8ELj100EEvPKT0_PS1_
	.p2align	8
	.type	_Z6kernelI2upxLj256ELj8ELj100EEvPKT0_PS1_,@function
_Z6kernelI2upxLj256ELj8ELj100EEvPKT0_PS1_: ; @_Z6kernelI2upxLj256ELj8ELj100EEvPKT0_PS1_
; %bb.0:
	s_load_b128 s[0:3], s[0:1], 0x0
	s_bfe_u32 s4, ttmp6, 0x4000c
	s_and_b32 s5, ttmp6, 15
	s_add_co_i32 s4, s4, 1
	s_getreg_b32 s6, hwreg(HW_REG_IB_STS2, 6, 4)
	s_mul_i32 s4, ttmp9, s4
	v_dual_lshlrev_b32 v1, 3, v0 :: v_dual_mov_b32 v21, 0
	s_add_co_i32 s5, s5, s4
	s_cmp_eq_u32 s6, 0
	v_cmp_ne_u32_e32 vcc_lo, 0, v0
	s_cselect_b32 s4, ttmp9, s5
	v_add_nc_u32_e32 v0, -8, v1
	v_lshl_or_b32 v20, s4, 11, v1
	s_wait_kmcnt 0x0
	s_delay_alu instid0(VALU_DEP_1)
	v_lshl_add_u64 v[18:19], v[20:21], 3, s[0:1]
	s_movk_i32 s0, 0x64
	s_clause 0x3
	global_load_b128 v[2:5], v[18:19], off offset:48
	global_load_b128 v[6:9], v[18:19], off offset:32
	global_load_b128 v[10:13], v[18:19], off offset:16
	global_load_b128 v[14:17], v[18:19], off
.LBB41_1:                               ; =>This Inner Loop Header: Depth=1
	s_wait_loadcnt 0x0
	s_delay_alu instid0(VALU_DEP_1)
	v_mov_b64_e32 v[18:19], v[14:15]
	ds_store_b64 v1, v[4:5]
	s_wait_dscnt 0x0
	s_barrier_signal -1
	s_barrier_wait -1
	s_and_saveexec_b32 s1, vcc_lo
; %bb.2:                                ;   in Loop: Header=BB41_1 Depth=1
	ds_load_b64 v[18:19], v0
; %bb.3:                                ;   in Loop: Header=BB41_1 Depth=1
	s_or_b32 exec_lo, exec_lo, s1
	s_add_co_i32 s0, s0, -1
	s_wait_dscnt 0x0
	s_cmp_lg_u32 s0, 0
	s_barrier_signal -1
	s_barrier_wait -1
	s_cbranch_scc0 .LBB41_5
; %bb.4:                                ;   in Loop: Header=BB41_1 Depth=1
	v_mov_b64_e32 v[4:5], v[2:3]
	v_mov_b64_e32 v[2:3], v[8:9]
	;; [unrolled: 1-line block ×8, first 2 shown]
	s_branch .LBB41_1
.LBB41_5:
	v_lshl_add_u64 v[22:23], v[20:21], 3, s[2:3]
	v_dual_mov_b32 v20, v14 :: v_dual_mov_b32 v21, v15
	v_dual_mov_b32 v14, v16 :: v_dual_mov_b32 v15, v17
	;; [unrolled: 1-line block ×5, first 2 shown]
	s_clause 0x3
	global_store_b128 v[22:23], v[18:21], off
	global_store_b128 v[22:23], v[14:17], off offset:16
	global_store_b128 v[22:23], v[4:7], off offset:32
	;; [unrolled: 1-line block ×3, first 2 shown]
	s_endpgm
	.section	.rodata,"a",@progbits
	.p2align	6, 0x0
	.amdhsa_kernel _Z6kernelI2upxLj256ELj8ELj100EEvPKT0_PS1_
		.amdhsa_group_segment_fixed_size 2048
		.amdhsa_private_segment_fixed_size 0
		.amdhsa_kernarg_size 16
		.amdhsa_user_sgpr_count 2
		.amdhsa_user_sgpr_dispatch_ptr 0
		.amdhsa_user_sgpr_queue_ptr 0
		.amdhsa_user_sgpr_kernarg_segment_ptr 1
		.amdhsa_user_sgpr_dispatch_id 0
		.amdhsa_user_sgpr_kernarg_preload_length 0
		.amdhsa_user_sgpr_kernarg_preload_offset 0
		.amdhsa_user_sgpr_private_segment_size 0
		.amdhsa_wavefront_size32 1
		.amdhsa_uses_dynamic_stack 0
		.amdhsa_enable_private_segment 0
		.amdhsa_system_sgpr_workgroup_id_x 1
		.amdhsa_system_sgpr_workgroup_id_y 0
		.amdhsa_system_sgpr_workgroup_id_z 0
		.amdhsa_system_sgpr_workgroup_info 0
		.amdhsa_system_vgpr_workitem_id 0
		.amdhsa_next_free_vgpr 24
		.amdhsa_next_free_sgpr 7
		.amdhsa_named_barrier_count 0
		.amdhsa_reserve_vcc 1
		.amdhsa_float_round_mode_32 0
		.amdhsa_float_round_mode_16_64 0
		.amdhsa_float_denorm_mode_32 3
		.amdhsa_float_denorm_mode_16_64 3
		.amdhsa_fp16_overflow 0
		.amdhsa_memory_ordered 1
		.amdhsa_forward_progress 1
		.amdhsa_inst_pref_size 3
		.amdhsa_round_robin_scheduling 0
		.amdhsa_exception_fp_ieee_invalid_op 0
		.amdhsa_exception_fp_denorm_src 0
		.amdhsa_exception_fp_ieee_div_zero 0
		.amdhsa_exception_fp_ieee_overflow 0
		.amdhsa_exception_fp_ieee_underflow 0
		.amdhsa_exception_fp_ieee_inexact 0
		.amdhsa_exception_int_div_zero 0
	.end_amdhsa_kernel
	.section	.text._Z6kernelI2upxLj256ELj8ELj100EEvPKT0_PS1_,"axG",@progbits,_Z6kernelI2upxLj256ELj8ELj100EEvPKT0_PS1_,comdat
.Lfunc_end41:
	.size	_Z6kernelI2upxLj256ELj8ELj100EEvPKT0_PS1_, .Lfunc_end41-_Z6kernelI2upxLj256ELj8ELj100EEvPKT0_PS1_
                                        ; -- End function
	.set _Z6kernelI2upxLj256ELj8ELj100EEvPKT0_PS1_.num_vgpr, 24
	.set _Z6kernelI2upxLj256ELj8ELj100EEvPKT0_PS1_.num_agpr, 0
	.set _Z6kernelI2upxLj256ELj8ELj100EEvPKT0_PS1_.numbered_sgpr, 7
	.set _Z6kernelI2upxLj256ELj8ELj100EEvPKT0_PS1_.num_named_barrier, 0
	.set _Z6kernelI2upxLj256ELj8ELj100EEvPKT0_PS1_.private_seg_size, 0
	.set _Z6kernelI2upxLj256ELj8ELj100EEvPKT0_PS1_.uses_vcc, 1
	.set _Z6kernelI2upxLj256ELj8ELj100EEvPKT0_PS1_.uses_flat_scratch, 0
	.set _Z6kernelI2upxLj256ELj8ELj100EEvPKT0_PS1_.has_dyn_sized_stack, 0
	.set _Z6kernelI2upxLj256ELj8ELj100EEvPKT0_PS1_.has_recursion, 0
	.set _Z6kernelI2upxLj256ELj8ELj100EEvPKT0_PS1_.has_indirect_call, 0
	.section	.AMDGPU.csdata,"",@progbits
; Kernel info:
; codeLenInByte = 356
; TotalNumSgprs: 9
; NumVgprs: 24
; ScratchSize: 0
; MemoryBound: 1
; FloatMode: 240
; IeeeMode: 1
; LDSByteSize: 2048 bytes/workgroup (compile time only)
; SGPRBlocks: 0
; VGPRBlocks: 1
; NumSGPRsForWavesPerEU: 9
; NumVGPRsForWavesPerEU: 24
; NamedBarCnt: 0
; Occupancy: 16
; WaveLimiterHint : 0
; COMPUTE_PGM_RSRC2:SCRATCH_EN: 0
; COMPUTE_PGM_RSRC2:USER_SGPR: 2
; COMPUTE_PGM_RSRC2:TRAP_HANDLER: 0
; COMPUTE_PGM_RSRC2:TGID_X_EN: 1
; COMPUTE_PGM_RSRC2:TGID_Y_EN: 0
; COMPUTE_PGM_RSRC2:TGID_Z_EN: 0
; COMPUTE_PGM_RSRC2:TIDIG_COMP_CNT: 0
	.section	.text._Z6kernelI2upxLj256ELj16ELj100EEvPKT0_PS1_,"axG",@progbits,_Z6kernelI2upxLj256ELj16ELj100EEvPKT0_PS1_,comdat
	.protected	_Z6kernelI2upxLj256ELj16ELj100EEvPKT0_PS1_ ; -- Begin function _Z6kernelI2upxLj256ELj16ELj100EEvPKT0_PS1_
	.globl	_Z6kernelI2upxLj256ELj16ELj100EEvPKT0_PS1_
	.p2align	8
	.type	_Z6kernelI2upxLj256ELj16ELj100EEvPKT0_PS1_,@function
_Z6kernelI2upxLj256ELj16ELj100EEvPKT0_PS1_: ; @_Z6kernelI2upxLj256ELj16ELj100EEvPKT0_PS1_
; %bb.0:
	s_load_b128 s[0:3], s[0:1], 0x0
	s_bfe_u32 s4, ttmp6, 0x4000c
	s_and_b32 s5, ttmp6, 15
	s_add_co_i32 s4, s4, 1
	s_getreg_b32 s6, hwreg(HW_REG_IB_STS2, 6, 4)
	s_mul_i32 s4, ttmp9, s4
	v_dual_lshlrev_b32 v1, 4, v0 :: v_dual_mov_b32 v37, 0
	s_add_co_i32 s5, s5, s4
	s_cmp_eq_u32 s6, 0
	v_cmp_ne_u32_e32 vcc_lo, 0, v0
	s_cselect_b32 s4, ttmp9, s5
	s_delay_alu instid0(SALU_CYCLE_1) | instskip(SKIP_1) | instid1(VALU_DEP_1)
	v_lshl_or_b32 v36, s4, 12, v1
	v_lshlrev_b32_e32 v1, 3, v0
	v_add_nc_u32_e32 v0, -8, v1
	s_wait_kmcnt 0x0
	s_delay_alu instid0(VALU_DEP_3)
	v_lshl_add_u64 v[34:35], v[36:37], 3, s[0:1]
	s_movk_i32 s0, 0x64
	s_clause 0x7
	global_load_b128 v[2:5], v[34:35], off offset:48
	global_load_b128 v[6:9], v[34:35], off offset:32
	;; [unrolled: 1-line block ×3, first 2 shown]
	global_load_b128 v[22:25], v[34:35], off
	global_load_b128 v[10:13], v[34:35], off offset:112
	global_load_b128 v[18:21], v[34:35], off offset:96
	;; [unrolled: 1-line block ×4, first 2 shown]
.LBB42_1:                               ; =>This Inner Loop Header: Depth=1
	s_wait_loadcnt 0x4
	s_wait_xcnt 0x0
	s_delay_alu instid0(VALU_DEP_1)
	v_mov_b64_e32 v[34:35], v[22:23]
	s_wait_loadcnt 0x3
	ds_store_b64 v1, v[12:13]
	s_wait_loadcnt_dscnt 0x0
	s_barrier_signal -1
	s_barrier_wait -1
	s_and_saveexec_b32 s1, vcc_lo
; %bb.2:                                ;   in Loop: Header=BB42_1 Depth=1
	ds_load_b64 v[34:35], v0
; %bb.3:                                ;   in Loop: Header=BB42_1 Depth=1
	s_or_b32 exec_lo, exec_lo, s1
	s_add_co_i32 s0, s0, -1
	s_wait_dscnt 0x0
	s_cmp_lg_u32 s0, 0
	s_barrier_signal -1
	s_barrier_wait -1
	s_cbranch_scc0 .LBB42_5
; %bb.4:                                ;   in Loop: Header=BB42_1 Depth=1
	v_mov_b64_e32 v[12:13], v[10:11]
	v_mov_b64_e32 v[10:11], v[20:21]
	;; [unrolled: 1-line block ×16, first 2 shown]
	s_branch .LBB42_1
.LBB42_5:
	v_lshl_add_u64 v[38:39], v[36:37], 3, s[2:3]
	v_dual_mov_b32 v36, v22 :: v_dual_mov_b32 v37, v23
	v_dual_mov_b32 v12, v24 :: v_dual_mov_b32 v13, v25
	s_clause 0x1
	global_store_b128 v[38:39], v[34:37], off
	global_store_b128 v[38:39], v[12:15], off offset:16
	s_wait_xcnt 0x0
	v_dual_mov_b32 v12, v16 :: v_dual_mov_b32 v13, v17
	v_dual_mov_b32 v14, v6 :: v_dual_mov_b32 v15, v7
	;; [unrolled: 1-line block ×8, first 2 shown]
	s_clause 0x5
	global_store_b128 v[38:39], v[12:15], off offset:32
	global_store_b128 v[38:39], v[0:3], off offset:48
	;; [unrolled: 1-line block ×6, first 2 shown]
	s_endpgm
	.section	.rodata,"a",@progbits
	.p2align	6, 0x0
	.amdhsa_kernel _Z6kernelI2upxLj256ELj16ELj100EEvPKT0_PS1_
		.amdhsa_group_segment_fixed_size 2048
		.amdhsa_private_segment_fixed_size 0
		.amdhsa_kernarg_size 16
		.amdhsa_user_sgpr_count 2
		.amdhsa_user_sgpr_dispatch_ptr 0
		.amdhsa_user_sgpr_queue_ptr 0
		.amdhsa_user_sgpr_kernarg_segment_ptr 1
		.amdhsa_user_sgpr_dispatch_id 0
		.amdhsa_user_sgpr_kernarg_preload_length 0
		.amdhsa_user_sgpr_kernarg_preload_offset 0
		.amdhsa_user_sgpr_private_segment_size 0
		.amdhsa_wavefront_size32 1
		.amdhsa_uses_dynamic_stack 0
		.amdhsa_enable_private_segment 0
		.amdhsa_system_sgpr_workgroup_id_x 1
		.amdhsa_system_sgpr_workgroup_id_y 0
		.amdhsa_system_sgpr_workgroup_id_z 0
		.amdhsa_system_sgpr_workgroup_info 0
		.amdhsa_system_vgpr_workitem_id 0
		.amdhsa_next_free_vgpr 40
		.amdhsa_next_free_sgpr 7
		.amdhsa_named_barrier_count 0
		.amdhsa_reserve_vcc 1
		.amdhsa_float_round_mode_32 0
		.amdhsa_float_round_mode_16_64 0
		.amdhsa_float_denorm_mode_32 3
		.amdhsa_float_denorm_mode_16_64 3
		.amdhsa_fp16_overflow 0
		.amdhsa_memory_ordered 1
		.amdhsa_forward_progress 1
		.amdhsa_inst_pref_size 5
		.amdhsa_round_robin_scheduling 0
		.amdhsa_exception_fp_ieee_invalid_op 0
		.amdhsa_exception_fp_denorm_src 0
		.amdhsa_exception_fp_ieee_div_zero 0
		.amdhsa_exception_fp_ieee_overflow 0
		.amdhsa_exception_fp_ieee_underflow 0
		.amdhsa_exception_fp_ieee_inexact 0
		.amdhsa_exception_int_div_zero 0
	.end_amdhsa_kernel
	.section	.text._Z6kernelI2upxLj256ELj16ELj100EEvPKT0_PS1_,"axG",@progbits,_Z6kernelI2upxLj256ELj16ELj100EEvPKT0_PS1_,comdat
.Lfunc_end42:
	.size	_Z6kernelI2upxLj256ELj16ELj100EEvPKT0_PS1_, .Lfunc_end42-_Z6kernelI2upxLj256ELj16ELj100EEvPKT0_PS1_
                                        ; -- End function
	.set _Z6kernelI2upxLj256ELj16ELj100EEvPKT0_PS1_.num_vgpr, 40
	.set _Z6kernelI2upxLj256ELj16ELj100EEvPKT0_PS1_.num_agpr, 0
	.set _Z6kernelI2upxLj256ELj16ELj100EEvPKT0_PS1_.numbered_sgpr, 7
	.set _Z6kernelI2upxLj256ELj16ELj100EEvPKT0_PS1_.num_named_barrier, 0
	.set _Z6kernelI2upxLj256ELj16ELj100EEvPKT0_PS1_.private_seg_size, 0
	.set _Z6kernelI2upxLj256ELj16ELj100EEvPKT0_PS1_.uses_vcc, 1
	.set _Z6kernelI2upxLj256ELj16ELj100EEvPKT0_PS1_.uses_flat_scratch, 0
	.set _Z6kernelI2upxLj256ELj16ELj100EEvPKT0_PS1_.has_dyn_sized_stack, 0
	.set _Z6kernelI2upxLj256ELj16ELj100EEvPKT0_PS1_.has_recursion, 0
	.set _Z6kernelI2upxLj256ELj16ELj100EEvPKT0_PS1_.has_indirect_call, 0
	.section	.AMDGPU.csdata,"",@progbits
; Kernel info:
; codeLenInByte = 548
; TotalNumSgprs: 9
; NumVgprs: 40
; ScratchSize: 0
; MemoryBound: 1
; FloatMode: 240
; IeeeMode: 1
; LDSByteSize: 2048 bytes/workgroup (compile time only)
; SGPRBlocks: 0
; VGPRBlocks: 2
; NumSGPRsForWavesPerEU: 9
; NumVGPRsForWavesPerEU: 40
; NamedBarCnt: 0
; Occupancy: 16
; WaveLimiterHint : 0
; COMPUTE_PGM_RSRC2:SCRATCH_EN: 0
; COMPUTE_PGM_RSRC2:USER_SGPR: 2
; COMPUTE_PGM_RSRC2:TRAP_HANDLER: 0
; COMPUTE_PGM_RSRC2:TGID_X_EN: 1
; COMPUTE_PGM_RSRC2:TGID_Y_EN: 0
; COMPUTE_PGM_RSRC2:TGID_Z_EN: 0
; COMPUTE_PGM_RSRC2:TIDIG_COMP_CNT: 0
	.section	.text._Z6kernelI2upxLj256ELj32ELj100EEvPKT0_PS1_,"axG",@progbits,_Z6kernelI2upxLj256ELj32ELj100EEvPKT0_PS1_,comdat
	.protected	_Z6kernelI2upxLj256ELj32ELj100EEvPKT0_PS1_ ; -- Begin function _Z6kernelI2upxLj256ELj32ELj100EEvPKT0_PS1_
	.globl	_Z6kernelI2upxLj256ELj32ELj100EEvPKT0_PS1_
	.p2align	8
	.type	_Z6kernelI2upxLj256ELj32ELj100EEvPKT0_PS1_,@function
_Z6kernelI2upxLj256ELj32ELj100EEvPKT0_PS1_: ; @_Z6kernelI2upxLj256ELj32ELj100EEvPKT0_PS1_
; %bb.0:
	s_load_b128 s[0:3], s[0:1], 0x0
	s_bfe_u32 s4, ttmp6, 0x4000c
	s_and_b32 s5, ttmp6, 15
	s_add_co_i32 s4, s4, 1
	s_getreg_b32 s6, hwreg(HW_REG_IB_STS2, 6, 4)
	s_mul_i32 s4, ttmp9, s4
	v_dual_lshlrev_b32 v1, 5, v0 :: v_dual_mov_b32 v69, 0
	s_add_co_i32 s5, s5, s4
	s_cmp_eq_u32 s6, 0
	v_cmp_ne_u32_e32 vcc_lo, 0, v0
	s_cselect_b32 s4, ttmp9, s5
	s_delay_alu instid0(SALU_CYCLE_1) | instskip(SKIP_1) | instid1(VALU_DEP_1)
	v_lshl_or_b32 v68, s4, 13, v1
	v_lshlrev_b32_e32 v1, 3, v0
	v_add_nc_u32_e32 v0, -8, v1
	s_wait_kmcnt 0x0
	s_delay_alu instid0(VALU_DEP_3)
	v_lshl_add_u64 v[18:19], v[68:69], 3, s[0:1]
	s_movk_i32 s0, 0x64
	s_clause 0xf
	global_load_b128 v[46:49], v[18:19], off offset:48
	global_load_b128 v[54:57], v[18:19], off offset:32
	;; [unrolled: 1-line block ×3, first 2 shown]
	global_load_b128 v[62:65], v[18:19], off
	global_load_b128 v[30:33], v[18:19], off offset:112
	global_load_b128 v[38:41], v[18:19], off offset:96
	global_load_b128 v[42:45], v[18:19], off offset:80
	global_load_b128 v[50:53], v[18:19], off offset:64
	global_load_b128 v[14:17], v[18:19], off offset:176
	global_load_b128 v[22:25], v[18:19], off offset:160
	global_load_b128 v[26:29], v[18:19], off offset:144
	global_load_b128 v[34:37], v[18:19], off offset:128
	global_load_b128 v[2:5], v[18:19], off offset:240
	global_load_b128 v[6:9], v[18:19], off offset:224
	global_load_b128 v[10:13], v[18:19], off offset:208
	global_load_b128 v[18:21], v[18:19], off offset:192
.LBB43_1:                               ; =>This Inner Loop Header: Depth=1
	s_wait_loadcnt 0xc
	s_delay_alu instid0(VALU_DEP_1)
	v_mov_b64_e32 v[66:67], v[62:63]
	s_wait_loadcnt 0x3
	ds_store_b64 v1, v[4:5]
	s_wait_loadcnt_dscnt 0x0
	s_barrier_signal -1
	s_barrier_wait -1
	s_and_saveexec_b32 s1, vcc_lo
; %bb.2:                                ;   in Loop: Header=BB43_1 Depth=1
	ds_load_b64 v[66:67], v0
; %bb.3:                                ;   in Loop: Header=BB43_1 Depth=1
	s_or_b32 exec_lo, exec_lo, s1
	s_add_co_i32 s0, s0, -1
	s_wait_dscnt 0x0
	s_cmp_lg_u32 s0, 0
	s_barrier_signal -1
	s_barrier_wait -1
	s_cbranch_scc0 .LBB43_5
; %bb.4:                                ;   in Loop: Header=BB43_1 Depth=1
	v_mov_b64_e32 v[4:5], v[2:3]
	v_mov_b64_e32 v[2:3], v[8:9]
	;; [unrolled: 1-line block ×32, first 2 shown]
	s_branch .LBB43_1
.LBB43_5:
	v_lshl_add_u64 v[70:71], v[68:69], 3, s[2:3]
	v_dual_mov_b32 v68, v62 :: v_dual_mov_b32 v69, v63
	v_dual_mov_b32 v62, v64 :: v_dual_mov_b32 v63, v65
	;; [unrolled: 1-line block ×28, first 2 shown]
	s_clause 0x9
	global_store_b128 v[70:71], v[66:69], off
	global_store_b128 v[70:71], v[62:65], off offset:16
	global_store_b128 v[70:71], v[58:61], off offset:32
	;; [unrolled: 1-line block ×9, first 2 shown]
	v_dual_mov_b32 v0, v8 :: v_dual_mov_b32 v1, v9
	s_clause 0x5
	global_store_b128 v[70:71], v[26:29], off offset:160
	global_store_b128 v[70:71], v[22:25], off offset:176
	;; [unrolled: 1-line block ×6, first 2 shown]
	s_sendmsg sendmsg(MSG_DEALLOC_VGPRS)
	s_endpgm
	.section	.rodata,"a",@progbits
	.p2align	6, 0x0
	.amdhsa_kernel _Z6kernelI2upxLj256ELj32ELj100EEvPKT0_PS1_
		.amdhsa_group_segment_fixed_size 2048
		.amdhsa_private_segment_fixed_size 0
		.amdhsa_kernarg_size 16
		.amdhsa_user_sgpr_count 2
		.amdhsa_user_sgpr_dispatch_ptr 0
		.amdhsa_user_sgpr_queue_ptr 0
		.amdhsa_user_sgpr_kernarg_segment_ptr 1
		.amdhsa_user_sgpr_dispatch_id 0
		.amdhsa_user_sgpr_kernarg_preload_length 0
		.amdhsa_user_sgpr_kernarg_preload_offset 0
		.amdhsa_user_sgpr_private_segment_size 0
		.amdhsa_wavefront_size32 1
		.amdhsa_uses_dynamic_stack 0
		.amdhsa_enable_private_segment 0
		.amdhsa_system_sgpr_workgroup_id_x 1
		.amdhsa_system_sgpr_workgroup_id_y 0
		.amdhsa_system_sgpr_workgroup_id_z 0
		.amdhsa_system_sgpr_workgroup_info 0
		.amdhsa_system_vgpr_workitem_id 0
		.amdhsa_next_free_vgpr 72
		.amdhsa_next_free_sgpr 7
		.amdhsa_named_barrier_count 0
		.amdhsa_reserve_vcc 1
		.amdhsa_float_round_mode_32 0
		.amdhsa_float_round_mode_16_64 0
		.amdhsa_float_denorm_mode_32 3
		.amdhsa_float_denorm_mode_16_64 3
		.amdhsa_fp16_overflow 0
		.amdhsa_memory_ordered 1
		.amdhsa_forward_progress 1
		.amdhsa_inst_pref_size 8
		.amdhsa_round_robin_scheduling 0
		.amdhsa_exception_fp_ieee_invalid_op 0
		.amdhsa_exception_fp_denorm_src 0
		.amdhsa_exception_fp_ieee_div_zero 0
		.amdhsa_exception_fp_ieee_overflow 0
		.amdhsa_exception_fp_ieee_underflow 0
		.amdhsa_exception_fp_ieee_inexact 0
		.amdhsa_exception_int_div_zero 0
	.end_amdhsa_kernel
	.section	.text._Z6kernelI2upxLj256ELj32ELj100EEvPKT0_PS1_,"axG",@progbits,_Z6kernelI2upxLj256ELj32ELj100EEvPKT0_PS1_,comdat
.Lfunc_end43:
	.size	_Z6kernelI2upxLj256ELj32ELj100EEvPKT0_PS1_, .Lfunc_end43-_Z6kernelI2upxLj256ELj32ELj100EEvPKT0_PS1_
                                        ; -- End function
	.set _Z6kernelI2upxLj256ELj32ELj100EEvPKT0_PS1_.num_vgpr, 72
	.set _Z6kernelI2upxLj256ELj32ELj100EEvPKT0_PS1_.num_agpr, 0
	.set _Z6kernelI2upxLj256ELj32ELj100EEvPKT0_PS1_.numbered_sgpr, 7
	.set _Z6kernelI2upxLj256ELj32ELj100EEvPKT0_PS1_.num_named_barrier, 0
	.set _Z6kernelI2upxLj256ELj32ELj100EEvPKT0_PS1_.private_seg_size, 0
	.set _Z6kernelI2upxLj256ELj32ELj100EEvPKT0_PS1_.uses_vcc, 1
	.set _Z6kernelI2upxLj256ELj32ELj100EEvPKT0_PS1_.uses_flat_scratch, 0
	.set _Z6kernelI2upxLj256ELj32ELj100EEvPKT0_PS1_.has_dyn_sized_stack, 0
	.set _Z6kernelI2upxLj256ELj32ELj100EEvPKT0_PS1_.has_recursion, 0
	.set _Z6kernelI2upxLj256ELj32ELj100EEvPKT0_PS1_.has_indirect_call, 0
	.section	.AMDGPU.csdata,"",@progbits
; Kernel info:
; codeLenInByte = 952
; TotalNumSgprs: 9
; NumVgprs: 72
; ScratchSize: 0
; MemoryBound: 1
; FloatMode: 240
; IeeeMode: 1
; LDSByteSize: 2048 bytes/workgroup (compile time only)
; SGPRBlocks: 0
; VGPRBlocks: 4
; NumSGPRsForWavesPerEU: 9
; NumVGPRsForWavesPerEU: 72
; NamedBarCnt: 0
; Occupancy: 12
; WaveLimiterHint : 0
; COMPUTE_PGM_RSRC2:SCRATCH_EN: 0
; COMPUTE_PGM_RSRC2:USER_SGPR: 2
; COMPUTE_PGM_RSRC2:TRAP_HANDLER: 0
; COMPUTE_PGM_RSRC2:TGID_X_EN: 1
; COMPUTE_PGM_RSRC2:TGID_Y_EN: 0
; COMPUTE_PGM_RSRC2:TGID_Z_EN: 0
; COMPUTE_PGM_RSRC2:TIDIG_COMP_CNT: 0
	.section	.text._Z6kernelI2upN15benchmark_utils11custom_typeIffEELj256ELj1ELj100EEvPKT0_PS4_,"axG",@progbits,_Z6kernelI2upN15benchmark_utils11custom_typeIffEELj256ELj1ELj100EEvPKT0_PS4_,comdat
	.protected	_Z6kernelI2upN15benchmark_utils11custom_typeIffEELj256ELj1ELj100EEvPKT0_PS4_ ; -- Begin function _Z6kernelI2upN15benchmark_utils11custom_typeIffEELj256ELj1ELj100EEvPKT0_PS4_
	.globl	_Z6kernelI2upN15benchmark_utils11custom_typeIffEELj256ELj1ELj100EEvPKT0_PS4_
	.p2align	8
	.type	_Z6kernelI2upN15benchmark_utils11custom_typeIffEELj256ELj1ELj100EEvPKT0_PS4_,@function
_Z6kernelI2upN15benchmark_utils11custom_typeIffEELj256ELj1ELj100EEvPKT0_PS4_: ; @_Z6kernelI2upN15benchmark_utils11custom_typeIffEELj256ELj1ELj100EEvPKT0_PS4_
; %bb.0:
	s_load_b128 s[0:3], s[0:1], 0x0
	s_bfe_u32 s4, ttmp6, 0x4000c
	s_and_b32 s5, ttmp6, 15
	s_add_co_i32 s4, s4, 1
	s_getreg_b32 s6, hwreg(HW_REG_IB_STS2, 6, 4)
	s_mul_i32 s4, ttmp9, s4
	v_dual_lshlrev_b32 v1, 3, v0 :: v_dual_mov_b32 v3, 0
	s_add_co_i32 s5, s5, s4
	s_cmp_eq_u32 s6, 0
	v_cmp_ne_u32_e32 vcc_lo, 0, v0
	s_cselect_b32 s4, ttmp9, s5
	s_delay_alu instid0(SALU_CYCLE_1)
	v_lshl_or_b32 v2, s4, 8, v0
	v_add_nc_u32_e32 v0, -8, v1
	s_wait_kmcnt 0x0
	global_load_b64 v[4:5], v2, s[0:1] scale_offset
	s_wait_xcnt 0x0
	s_movk_i32 s0, 0x64
	s_branch .LBB44_2
.LBB44_1:                               ;   in Loop: Header=BB44_2 Depth=1
	s_or_b32 exec_lo, exec_lo, s1
	s_add_co_i32 s0, s0, -1
	s_wait_dscnt 0x0
	s_cmp_lg_u32 s0, 0
	s_barrier_signal -1
	s_barrier_wait -1
	s_cbranch_scc0 .LBB44_4
.LBB44_2:                               ; =>This Inner Loop Header: Depth=1
	s_wait_loadcnt 0x0
	ds_store_2addr_b32 v1, v4, v5 offset1:1
	s_wait_dscnt 0x0
	s_barrier_signal -1
	s_barrier_wait -1
	s_and_saveexec_b32 s1, vcc_lo
	s_cbranch_execz .LBB44_1
; %bb.3:                                ;   in Loop: Header=BB44_2 Depth=1
	ds_load_2addr_b32 v[4:5], v0 offset1:1
	s_branch .LBB44_1
.LBB44_4:
	v_lshl_add_u64 v[0:1], v[2:3], 3, s[2:3]
	global_store_b64 v[0:1], v[4:5], off
	s_endpgm
	.section	.rodata,"a",@progbits
	.p2align	6, 0x0
	.amdhsa_kernel _Z6kernelI2upN15benchmark_utils11custom_typeIffEELj256ELj1ELj100EEvPKT0_PS4_
		.amdhsa_group_segment_fixed_size 2048
		.amdhsa_private_segment_fixed_size 0
		.amdhsa_kernarg_size 16
		.amdhsa_user_sgpr_count 2
		.amdhsa_user_sgpr_dispatch_ptr 0
		.amdhsa_user_sgpr_queue_ptr 0
		.amdhsa_user_sgpr_kernarg_segment_ptr 1
		.amdhsa_user_sgpr_dispatch_id 0
		.amdhsa_user_sgpr_kernarg_preload_length 0
		.amdhsa_user_sgpr_kernarg_preload_offset 0
		.amdhsa_user_sgpr_private_segment_size 0
		.amdhsa_wavefront_size32 1
		.amdhsa_uses_dynamic_stack 0
		.amdhsa_enable_private_segment 0
		.amdhsa_system_sgpr_workgroup_id_x 1
		.amdhsa_system_sgpr_workgroup_id_y 0
		.amdhsa_system_sgpr_workgroup_id_z 0
		.amdhsa_system_sgpr_workgroup_info 0
		.amdhsa_system_vgpr_workitem_id 0
		.amdhsa_next_free_vgpr 6
		.amdhsa_next_free_sgpr 7
		.amdhsa_named_barrier_count 0
		.amdhsa_reserve_vcc 1
		.amdhsa_float_round_mode_32 0
		.amdhsa_float_round_mode_16_64 0
		.amdhsa_float_denorm_mode_32 3
		.amdhsa_float_denorm_mode_16_64 3
		.amdhsa_fp16_overflow 0
		.amdhsa_memory_ordered 1
		.amdhsa_forward_progress 1
		.amdhsa_inst_pref_size 2
		.amdhsa_round_robin_scheduling 0
		.amdhsa_exception_fp_ieee_invalid_op 0
		.amdhsa_exception_fp_denorm_src 0
		.amdhsa_exception_fp_ieee_div_zero 0
		.amdhsa_exception_fp_ieee_overflow 0
		.amdhsa_exception_fp_ieee_underflow 0
		.amdhsa_exception_fp_ieee_inexact 0
		.amdhsa_exception_int_div_zero 0
	.end_amdhsa_kernel
	.section	.text._Z6kernelI2upN15benchmark_utils11custom_typeIffEELj256ELj1ELj100EEvPKT0_PS4_,"axG",@progbits,_Z6kernelI2upN15benchmark_utils11custom_typeIffEELj256ELj1ELj100EEvPKT0_PS4_,comdat
.Lfunc_end44:
	.size	_Z6kernelI2upN15benchmark_utils11custom_typeIffEELj256ELj1ELj100EEvPKT0_PS4_, .Lfunc_end44-_Z6kernelI2upN15benchmark_utils11custom_typeIffEELj256ELj1ELj100EEvPKT0_PS4_
                                        ; -- End function
	.set _Z6kernelI2upN15benchmark_utils11custom_typeIffEELj256ELj1ELj100EEvPKT0_PS4_.num_vgpr, 6
	.set _Z6kernelI2upN15benchmark_utils11custom_typeIffEELj256ELj1ELj100EEvPKT0_PS4_.num_agpr, 0
	.set _Z6kernelI2upN15benchmark_utils11custom_typeIffEELj256ELj1ELj100EEvPKT0_PS4_.numbered_sgpr, 7
	.set _Z6kernelI2upN15benchmark_utils11custom_typeIffEELj256ELj1ELj100EEvPKT0_PS4_.num_named_barrier, 0
	.set _Z6kernelI2upN15benchmark_utils11custom_typeIffEELj256ELj1ELj100EEvPKT0_PS4_.private_seg_size, 0
	.set _Z6kernelI2upN15benchmark_utils11custom_typeIffEELj256ELj1ELj100EEvPKT0_PS4_.uses_vcc, 1
	.set _Z6kernelI2upN15benchmark_utils11custom_typeIffEELj256ELj1ELj100EEvPKT0_PS4_.uses_flat_scratch, 0
	.set _Z6kernelI2upN15benchmark_utils11custom_typeIffEELj256ELj1ELj100EEvPKT0_PS4_.has_dyn_sized_stack, 0
	.set _Z6kernelI2upN15benchmark_utils11custom_typeIffEELj256ELj1ELj100EEvPKT0_PS4_.has_recursion, 0
	.set _Z6kernelI2upN15benchmark_utils11custom_typeIffEELj256ELj1ELj100EEvPKT0_PS4_.has_indirect_call, 0
	.section	.AMDGPU.csdata,"",@progbits
; Kernel info:
; codeLenInByte = 200
; TotalNumSgprs: 9
; NumVgprs: 6
; ScratchSize: 0
; MemoryBound: 0
; FloatMode: 240
; IeeeMode: 1
; LDSByteSize: 2048 bytes/workgroup (compile time only)
; SGPRBlocks: 0
; VGPRBlocks: 0
; NumSGPRsForWavesPerEU: 9
; NumVGPRsForWavesPerEU: 6
; NamedBarCnt: 0
; Occupancy: 16
; WaveLimiterHint : 0
; COMPUTE_PGM_RSRC2:SCRATCH_EN: 0
; COMPUTE_PGM_RSRC2:USER_SGPR: 2
; COMPUTE_PGM_RSRC2:TRAP_HANDLER: 0
; COMPUTE_PGM_RSRC2:TGID_X_EN: 1
; COMPUTE_PGM_RSRC2:TGID_Y_EN: 0
; COMPUTE_PGM_RSRC2:TGID_Z_EN: 0
; COMPUTE_PGM_RSRC2:TIDIG_COMP_CNT: 0
	.section	.text._Z6kernelI2upN15benchmark_utils11custom_typeIffEELj256ELj3ELj100EEvPKT0_PS4_,"axG",@progbits,_Z6kernelI2upN15benchmark_utils11custom_typeIffEELj256ELj3ELj100EEvPKT0_PS4_,comdat
	.protected	_Z6kernelI2upN15benchmark_utils11custom_typeIffEELj256ELj3ELj100EEvPKT0_PS4_ ; -- Begin function _Z6kernelI2upN15benchmark_utils11custom_typeIffEELj256ELj3ELj100EEvPKT0_PS4_
	.globl	_Z6kernelI2upN15benchmark_utils11custom_typeIffEELj256ELj3ELj100EEvPKT0_PS4_
	.p2align	8
	.type	_Z6kernelI2upN15benchmark_utils11custom_typeIffEELj256ELj3ELj100EEvPKT0_PS4_,@function
_Z6kernelI2upN15benchmark_utils11custom_typeIffEELj256ELj3ELj100EEvPKT0_PS4_: ; @_Z6kernelI2upN15benchmark_utils11custom_typeIffEELj256ELj3ELj100EEvPKT0_PS4_
; %bb.0:
	s_bfe_u32 s4, ttmp6, 0x4000c
	s_and_b32 s5, ttmp6, 15
	s_add_co_i32 s4, s4, 1
	s_load_b128 s[0:3], s[0:1], 0x0
	s_mul_i32 s4, ttmp9, s4
	s_getreg_b32 s6, hwreg(HW_REG_IB_STS2, 6, 4)
	s_add_co_i32 s5, s5, s4
	s_cmp_eq_u32 s6, 0
	v_dual_mov_b32 v3, 0 :: v_dual_lshlrev_b32 v16, 3, v0
	s_cselect_b32 s4, ttmp9, s5
	v_cmp_ne_u32_e32 vcc_lo, 0, v0
	v_lshl_or_b32 v1, s4, 8, v0
	s_delay_alu instid0(VALU_DEP_3) | instskip(SKIP_1) | instid1(VALU_DEP_3)
	v_dual_mov_b32 v5, v3 :: v_dual_mov_b32 v7, v3
	v_add_nc_u32_e32 v17, -8, v16
	v_lshl_add_u32 v2, v1, 1, v1
	s_delay_alu instid0(VALU_DEP_1)
	v_dual_add_nc_u32 v4, 1, v2 :: v_dual_add_nc_u32 v6, 2, v2
	s_wait_kmcnt 0x0
	s_clause 0x2
	global_load_b64 v[8:9], v2, s[0:1] scale_offset
	global_load_b64 v[12:13], v4, s[0:1] scale_offset
	;; [unrolled: 1-line block ×3, first 2 shown]
	s_wait_xcnt 0x0
	s_movk_i32 s0, 0x64
	s_wait_loadcnt 0x2
	v_mov_b64_e32 v[0:1], v[8:9]
.LBB45_1:                               ; =>This Inner Loop Header: Depth=1
	s_wait_loadcnt 0x1
	s_delay_alu instid0(VALU_DEP_3)
	v_mov_b64_e32 v[10:11], v[12:13]
	s_wait_loadcnt 0x0
	ds_store_2addr_b32 v16, v14, v15 offset1:1
	s_wait_dscnt 0x0
	s_barrier_signal -1
	s_barrier_wait -1
	s_and_saveexec_b32 s1, vcc_lo
; %bb.2:                                ;   in Loop: Header=BB45_1 Depth=1
	ds_load_2addr_b32 v[0:1], v17 offset1:1
; %bb.3:                                ;   in Loop: Header=BB45_1 Depth=1
	s_or_b32 exec_lo, exec_lo, s1
	s_add_co_i32 s0, s0, -1
	s_wait_dscnt 0x0
	s_cmp_lg_u32 s0, 0
	s_barrier_signal -1
	s_barrier_wait -1
	s_cbranch_scc0 .LBB45_5
; %bb.4:                                ;   in Loop: Header=BB45_1 Depth=1
	v_mov_b64_e32 v[12:13], v[8:9]
	v_mov_b64_e32 v[8:9], v[0:1]
	;; [unrolled: 1-line block ×3, first 2 shown]
	s_branch .LBB45_1
.LBB45_5:
	v_lshl_add_u64 v[2:3], v[2:3], 3, s[2:3]
	v_lshl_add_u64 v[4:5], v[4:5], 3, s[2:3]
	;; [unrolled: 1-line block ×3, first 2 shown]
	s_clause 0x2
	global_store_b64 v[2:3], v[0:1], off
	global_store_b64 v[4:5], v[8:9], off
	;; [unrolled: 1-line block ×3, first 2 shown]
	s_endpgm
	.section	.rodata,"a",@progbits
	.p2align	6, 0x0
	.amdhsa_kernel _Z6kernelI2upN15benchmark_utils11custom_typeIffEELj256ELj3ELj100EEvPKT0_PS4_
		.amdhsa_group_segment_fixed_size 2048
		.amdhsa_private_segment_fixed_size 0
		.amdhsa_kernarg_size 16
		.amdhsa_user_sgpr_count 2
		.amdhsa_user_sgpr_dispatch_ptr 0
		.amdhsa_user_sgpr_queue_ptr 0
		.amdhsa_user_sgpr_kernarg_segment_ptr 1
		.amdhsa_user_sgpr_dispatch_id 0
		.amdhsa_user_sgpr_kernarg_preload_length 0
		.amdhsa_user_sgpr_kernarg_preload_offset 0
		.amdhsa_user_sgpr_private_segment_size 0
		.amdhsa_wavefront_size32 1
		.amdhsa_uses_dynamic_stack 0
		.amdhsa_enable_private_segment 0
		.amdhsa_system_sgpr_workgroup_id_x 1
		.amdhsa_system_sgpr_workgroup_id_y 0
		.amdhsa_system_sgpr_workgroup_id_z 0
		.amdhsa_system_sgpr_workgroup_info 0
		.amdhsa_system_vgpr_workitem_id 0
		.amdhsa_next_free_vgpr 18
		.amdhsa_next_free_sgpr 7
		.amdhsa_named_barrier_count 0
		.amdhsa_reserve_vcc 1
		.amdhsa_float_round_mode_32 0
		.amdhsa_float_round_mode_16_64 0
		.amdhsa_float_denorm_mode_32 3
		.amdhsa_float_denorm_mode_16_64 3
		.amdhsa_fp16_overflow 0
		.amdhsa_memory_ordered 1
		.amdhsa_forward_progress 1
		.amdhsa_inst_pref_size 3
		.amdhsa_round_robin_scheduling 0
		.amdhsa_exception_fp_ieee_invalid_op 0
		.amdhsa_exception_fp_denorm_src 0
		.amdhsa_exception_fp_ieee_div_zero 0
		.amdhsa_exception_fp_ieee_overflow 0
		.amdhsa_exception_fp_ieee_underflow 0
		.amdhsa_exception_fp_ieee_inexact 0
		.amdhsa_exception_int_div_zero 0
	.end_amdhsa_kernel
	.section	.text._Z6kernelI2upN15benchmark_utils11custom_typeIffEELj256ELj3ELj100EEvPKT0_PS4_,"axG",@progbits,_Z6kernelI2upN15benchmark_utils11custom_typeIffEELj256ELj3ELj100EEvPKT0_PS4_,comdat
.Lfunc_end45:
	.size	_Z6kernelI2upN15benchmark_utils11custom_typeIffEELj256ELj3ELj100EEvPKT0_PS4_, .Lfunc_end45-_Z6kernelI2upN15benchmark_utils11custom_typeIffEELj256ELj3ELj100EEvPKT0_PS4_
                                        ; -- End function
	.set _Z6kernelI2upN15benchmark_utils11custom_typeIffEELj256ELj3ELj100EEvPKT0_PS4_.num_vgpr, 18
	.set _Z6kernelI2upN15benchmark_utils11custom_typeIffEELj256ELj3ELj100EEvPKT0_PS4_.num_agpr, 0
	.set _Z6kernelI2upN15benchmark_utils11custom_typeIffEELj256ELj3ELj100EEvPKT0_PS4_.numbered_sgpr, 7
	.set _Z6kernelI2upN15benchmark_utils11custom_typeIffEELj256ELj3ELj100EEvPKT0_PS4_.num_named_barrier, 0
	.set _Z6kernelI2upN15benchmark_utils11custom_typeIffEELj256ELj3ELj100EEvPKT0_PS4_.private_seg_size, 0
	.set _Z6kernelI2upN15benchmark_utils11custom_typeIffEELj256ELj3ELj100EEvPKT0_PS4_.uses_vcc, 1
	.set _Z6kernelI2upN15benchmark_utils11custom_typeIffEELj256ELj3ELj100EEvPKT0_PS4_.uses_flat_scratch, 0
	.set _Z6kernelI2upN15benchmark_utils11custom_typeIffEELj256ELj3ELj100EEvPKT0_PS4_.has_dyn_sized_stack, 0
	.set _Z6kernelI2upN15benchmark_utils11custom_typeIffEELj256ELj3ELj100EEvPKT0_PS4_.has_recursion, 0
	.set _Z6kernelI2upN15benchmark_utils11custom_typeIffEELj256ELj3ELj100EEvPKT0_PS4_.has_indirect_call, 0
	.section	.AMDGPU.csdata,"",@progbits
; Kernel info:
; codeLenInByte = 328
; TotalNumSgprs: 9
; NumVgprs: 18
; ScratchSize: 0
; MemoryBound: 0
; FloatMode: 240
; IeeeMode: 1
; LDSByteSize: 2048 bytes/workgroup (compile time only)
; SGPRBlocks: 0
; VGPRBlocks: 1
; NumSGPRsForWavesPerEU: 9
; NumVGPRsForWavesPerEU: 18
; NamedBarCnt: 0
; Occupancy: 16
; WaveLimiterHint : 0
; COMPUTE_PGM_RSRC2:SCRATCH_EN: 0
; COMPUTE_PGM_RSRC2:USER_SGPR: 2
; COMPUTE_PGM_RSRC2:TRAP_HANDLER: 0
; COMPUTE_PGM_RSRC2:TGID_X_EN: 1
; COMPUTE_PGM_RSRC2:TGID_Y_EN: 0
; COMPUTE_PGM_RSRC2:TGID_Z_EN: 0
; COMPUTE_PGM_RSRC2:TIDIG_COMP_CNT: 0
	.section	.text._Z6kernelI2upN15benchmark_utils11custom_typeIffEELj256ELj4ELj100EEvPKT0_PS4_,"axG",@progbits,_Z6kernelI2upN15benchmark_utils11custom_typeIffEELj256ELj4ELj100EEvPKT0_PS4_,comdat
	.protected	_Z6kernelI2upN15benchmark_utils11custom_typeIffEELj256ELj4ELj100EEvPKT0_PS4_ ; -- Begin function _Z6kernelI2upN15benchmark_utils11custom_typeIffEELj256ELj4ELj100EEvPKT0_PS4_
	.globl	_Z6kernelI2upN15benchmark_utils11custom_typeIffEELj256ELj4ELj100EEvPKT0_PS4_
	.p2align	8
	.type	_Z6kernelI2upN15benchmark_utils11custom_typeIffEELj256ELj4ELj100EEvPKT0_PS4_,@function
_Z6kernelI2upN15benchmark_utils11custom_typeIffEELj256ELj4ELj100EEvPKT0_PS4_: ; @_Z6kernelI2upN15benchmark_utils11custom_typeIffEELj256ELj4ELj100EEvPKT0_PS4_
; %bb.0:
	s_load_b128 s[0:3], s[0:1], 0x0
	s_bfe_u32 s4, ttmp6, 0x4000c
	s_and_b32 s5, ttmp6, 15
	s_add_co_i32 s4, s4, 1
	s_getreg_b32 s6, hwreg(HW_REG_IB_STS2, 6, 4)
	s_mul_i32 s4, ttmp9, s4
	v_dual_lshlrev_b32 v1, 2, v0 :: v_dual_mov_b32 v11, 0
	s_add_co_i32 s5, s5, s4
	s_cmp_eq_u32 s6, 0
	v_cmp_ne_u32_e32 vcc_lo, 0, v0
	s_cselect_b32 s4, ttmp9, s5
	s_delay_alu instid0(SALU_CYCLE_1) | instskip(SKIP_1) | instid1(VALU_DEP_1)
	v_lshl_or_b32 v10, s4, 10, v1
	s_wait_kmcnt 0x0
	v_lshl_add_u64 v[12:13], v[10:11], 3, s[0:1]
	s_movk_i32 s0, 0x64
	s_clause 0x1
	global_load_b128 v[2:5], v[12:13], off offset:16
	global_load_b128 v[6:9], v[12:13], off
	s_wait_xcnt 0x0
	v_lshlrev_b32_e32 v12, 3, v0
	s_delay_alu instid0(VALU_DEP_1)
	v_add_nc_u32_e32 v13, -8, v12
.LBB46_1:                               ; =>This Inner Loop Header: Depth=1
	s_wait_loadcnt 0x1
	v_mov_b64_e32 v[0:1], v[2:3]
	s_wait_loadcnt 0x0
	v_mov_b64_e32 v[2:3], v[8:9]
	v_mov_b64_e32 v[8:9], v[6:7]
	ds_store_2addr_b32 v12, v4, v5 offset1:1
	s_wait_dscnt 0x0
	s_barrier_signal -1
	s_barrier_wait -1
	s_and_saveexec_b32 s1, vcc_lo
; %bb.2:                                ;   in Loop: Header=BB46_1 Depth=1
	ds_load_2addr_b32 v[6:7], v13 offset1:1
; %bb.3:                                ;   in Loop: Header=BB46_1 Depth=1
	s_or_b32 exec_lo, exec_lo, s1
	s_add_co_i32 s0, s0, -1
	s_wait_dscnt 0x0
	s_cmp_lg_u32 s0, 0
	s_barrier_signal -1
	s_barrier_wait -1
	s_cbranch_scc0 .LBB46_5
; %bb.4:                                ;   in Loop: Header=BB46_1 Depth=1
	v_mov_b64_e32 v[4:5], v[0:1]
	s_branch .LBB46_1
.LBB46_5:
	v_lshl_add_u64 v[10:11], v[10:11], 3, s[2:3]
	v_dual_mov_b32 v4, v0 :: v_dual_mov_b32 v5, v1
	s_clause 0x1
	global_store_b128 v[10:11], v[6:9], off
	global_store_b128 v[10:11], v[2:5], off offset:16
	s_endpgm
	.section	.rodata,"a",@progbits
	.p2align	6, 0x0
	.amdhsa_kernel _Z6kernelI2upN15benchmark_utils11custom_typeIffEELj256ELj4ELj100EEvPKT0_PS4_
		.amdhsa_group_segment_fixed_size 2048
		.amdhsa_private_segment_fixed_size 0
		.amdhsa_kernarg_size 16
		.amdhsa_user_sgpr_count 2
		.amdhsa_user_sgpr_dispatch_ptr 0
		.amdhsa_user_sgpr_queue_ptr 0
		.amdhsa_user_sgpr_kernarg_segment_ptr 1
		.amdhsa_user_sgpr_dispatch_id 0
		.amdhsa_user_sgpr_kernarg_preload_length 0
		.amdhsa_user_sgpr_kernarg_preload_offset 0
		.amdhsa_user_sgpr_private_segment_size 0
		.amdhsa_wavefront_size32 1
		.amdhsa_uses_dynamic_stack 0
		.amdhsa_enable_private_segment 0
		.amdhsa_system_sgpr_workgroup_id_x 1
		.amdhsa_system_sgpr_workgroup_id_y 0
		.amdhsa_system_sgpr_workgroup_id_z 0
		.amdhsa_system_sgpr_workgroup_info 0
		.amdhsa_system_vgpr_workitem_id 0
		.amdhsa_next_free_vgpr 14
		.amdhsa_next_free_sgpr 7
		.amdhsa_named_barrier_count 0
		.amdhsa_reserve_vcc 1
		.amdhsa_float_round_mode_32 0
		.amdhsa_float_round_mode_16_64 0
		.amdhsa_float_denorm_mode_32 3
		.amdhsa_float_denorm_mode_16_64 3
		.amdhsa_fp16_overflow 0
		.amdhsa_memory_ordered 1
		.amdhsa_forward_progress 1
		.amdhsa_inst_pref_size 3
		.amdhsa_round_robin_scheduling 0
		.amdhsa_exception_fp_ieee_invalid_op 0
		.amdhsa_exception_fp_denorm_src 0
		.amdhsa_exception_fp_ieee_div_zero 0
		.amdhsa_exception_fp_ieee_overflow 0
		.amdhsa_exception_fp_ieee_underflow 0
		.amdhsa_exception_fp_ieee_inexact 0
		.amdhsa_exception_int_div_zero 0
	.end_amdhsa_kernel
	.section	.text._Z6kernelI2upN15benchmark_utils11custom_typeIffEELj256ELj4ELj100EEvPKT0_PS4_,"axG",@progbits,_Z6kernelI2upN15benchmark_utils11custom_typeIffEELj256ELj4ELj100EEvPKT0_PS4_,comdat
.Lfunc_end46:
	.size	_Z6kernelI2upN15benchmark_utils11custom_typeIffEELj256ELj4ELj100EEvPKT0_PS4_, .Lfunc_end46-_Z6kernelI2upN15benchmark_utils11custom_typeIffEELj256ELj4ELj100EEvPKT0_PS4_
                                        ; -- End function
	.set _Z6kernelI2upN15benchmark_utils11custom_typeIffEELj256ELj4ELj100EEvPKT0_PS4_.num_vgpr, 14
	.set _Z6kernelI2upN15benchmark_utils11custom_typeIffEELj256ELj4ELj100EEvPKT0_PS4_.num_agpr, 0
	.set _Z6kernelI2upN15benchmark_utils11custom_typeIffEELj256ELj4ELj100EEvPKT0_PS4_.numbered_sgpr, 7
	.set _Z6kernelI2upN15benchmark_utils11custom_typeIffEELj256ELj4ELj100EEvPKT0_PS4_.num_named_barrier, 0
	.set _Z6kernelI2upN15benchmark_utils11custom_typeIffEELj256ELj4ELj100EEvPKT0_PS4_.private_seg_size, 0
	.set _Z6kernelI2upN15benchmark_utils11custom_typeIffEELj256ELj4ELj100EEvPKT0_PS4_.uses_vcc, 1
	.set _Z6kernelI2upN15benchmark_utils11custom_typeIffEELj256ELj4ELj100EEvPKT0_PS4_.uses_flat_scratch, 0
	.set _Z6kernelI2upN15benchmark_utils11custom_typeIffEELj256ELj4ELj100EEvPKT0_PS4_.has_dyn_sized_stack, 0
	.set _Z6kernelI2upN15benchmark_utils11custom_typeIffEELj256ELj4ELj100EEvPKT0_PS4_.has_recursion, 0
	.set _Z6kernelI2upN15benchmark_utils11custom_typeIffEELj256ELj4ELj100EEvPKT0_PS4_.has_indirect_call, 0
	.section	.AMDGPU.csdata,"",@progbits
; Kernel info:
; codeLenInByte = 268
; TotalNumSgprs: 9
; NumVgprs: 14
; ScratchSize: 0
; MemoryBound: 0
; FloatMode: 240
; IeeeMode: 1
; LDSByteSize: 2048 bytes/workgroup (compile time only)
; SGPRBlocks: 0
; VGPRBlocks: 0
; NumSGPRsForWavesPerEU: 9
; NumVGPRsForWavesPerEU: 14
; NamedBarCnt: 0
; Occupancy: 16
; WaveLimiterHint : 0
; COMPUTE_PGM_RSRC2:SCRATCH_EN: 0
; COMPUTE_PGM_RSRC2:USER_SGPR: 2
; COMPUTE_PGM_RSRC2:TRAP_HANDLER: 0
; COMPUTE_PGM_RSRC2:TGID_X_EN: 1
; COMPUTE_PGM_RSRC2:TGID_Y_EN: 0
; COMPUTE_PGM_RSRC2:TGID_Z_EN: 0
; COMPUTE_PGM_RSRC2:TIDIG_COMP_CNT: 0
	.section	.text._Z6kernelI2upN15benchmark_utils11custom_typeIffEELj256ELj8ELj100EEvPKT0_PS4_,"axG",@progbits,_Z6kernelI2upN15benchmark_utils11custom_typeIffEELj256ELj8ELj100EEvPKT0_PS4_,comdat
	.protected	_Z6kernelI2upN15benchmark_utils11custom_typeIffEELj256ELj8ELj100EEvPKT0_PS4_ ; -- Begin function _Z6kernelI2upN15benchmark_utils11custom_typeIffEELj256ELj8ELj100EEvPKT0_PS4_
	.globl	_Z6kernelI2upN15benchmark_utils11custom_typeIffEELj256ELj8ELj100EEvPKT0_PS4_
	.p2align	8
	.type	_Z6kernelI2upN15benchmark_utils11custom_typeIffEELj256ELj8ELj100EEvPKT0_PS4_,@function
_Z6kernelI2upN15benchmark_utils11custom_typeIffEELj256ELj8ELj100EEvPKT0_PS4_: ; @_Z6kernelI2upN15benchmark_utils11custom_typeIffEELj256ELj8ELj100EEvPKT0_PS4_
; %bb.0:
	s_load_b128 s[0:3], s[0:1], 0x0
	s_bfe_u32 s4, ttmp6, 0x4000c
	s_and_b32 s5, ttmp6, 15
	s_add_co_i32 s4, s4, 1
	s_getreg_b32 s6, hwreg(HW_REG_IB_STS2, 6, 4)
	s_mul_i32 s4, ttmp9, s4
	v_dual_mov_b32 v19, 0 :: v_dual_lshlrev_b32 v20, 3, v0
	s_add_co_i32 s5, s5, s4
	s_cmp_eq_u32 s6, 0
	v_cmp_ne_u32_e32 vcc_lo, 0, v0
	s_cselect_b32 s4, ttmp9, s5
	v_add_nc_u32_e32 v21, -8, v20
	v_lshl_or_b32 v18, s4, 11, v20
	s_wait_kmcnt 0x0
	s_delay_alu instid0(VALU_DEP_1)
	v_lshl_add_u64 v[22:23], v[18:19], 3, s[0:1]
	s_movk_i32 s0, 0x64
	s_clause 0x3
	global_load_b128 v[2:5], v[22:23], off offset:48
	global_load_b128 v[6:9], v[22:23], off offset:32
	;; [unrolled: 1-line block ×3, first 2 shown]
	global_load_b128 v[14:17], v[22:23], off
.LBB47_1:                               ; =>This Inner Loop Header: Depth=1
	s_wait_loadcnt 0x3
	v_mov_b64_e32 v[0:1], v[2:3]
	s_wait_loadcnt 0x2
	v_mov_b64_e32 v[2:3], v[8:9]
	v_mov_b64_e32 v[8:9], v[6:7]
	s_wait_loadcnt 0x1
	v_mov_b64_e32 v[6:7], v[12:13]
	v_mov_b64_e32 v[12:13], v[10:11]
	s_wait_loadcnt 0x0
	v_mov_b64_e32 v[10:11], v[16:17]
	v_mov_b64_e32 v[16:17], v[14:15]
	ds_store_2addr_b32 v20, v4, v5 offset1:1
	s_wait_dscnt 0x0
	s_barrier_signal -1
	s_barrier_wait -1
	s_and_saveexec_b32 s1, vcc_lo
; %bb.2:                                ;   in Loop: Header=BB47_1 Depth=1
	ds_load_2addr_b32 v[14:15], v21 offset1:1
; %bb.3:                                ;   in Loop: Header=BB47_1 Depth=1
	s_or_b32 exec_lo, exec_lo, s1
	s_add_co_i32 s0, s0, -1
	s_wait_dscnt 0x0
	s_cmp_lg_u32 s0, 0
	s_barrier_signal -1
	s_barrier_wait -1
	s_cbranch_scc0 .LBB47_5
; %bb.4:                                ;   in Loop: Header=BB47_1 Depth=1
	v_mov_b64_e32 v[4:5], v[0:1]
	s_branch .LBB47_1
.LBB47_5:
	v_lshl_add_u64 v[18:19], v[18:19], 3, s[2:3]
	v_dual_mov_b32 v4, v0 :: v_dual_mov_b32 v5, v1
	s_clause 0x3
	global_store_b128 v[18:19], v[14:17], off
	global_store_b128 v[18:19], v[10:13], off offset:16
	global_store_b128 v[18:19], v[6:9], off offset:32
	global_store_b128 v[18:19], v[2:5], off offset:48
	s_endpgm
	.section	.rodata,"a",@progbits
	.p2align	6, 0x0
	.amdhsa_kernel _Z6kernelI2upN15benchmark_utils11custom_typeIffEELj256ELj8ELj100EEvPKT0_PS4_
		.amdhsa_group_segment_fixed_size 2048
		.amdhsa_private_segment_fixed_size 0
		.amdhsa_kernarg_size 16
		.amdhsa_user_sgpr_count 2
		.amdhsa_user_sgpr_dispatch_ptr 0
		.amdhsa_user_sgpr_queue_ptr 0
		.amdhsa_user_sgpr_kernarg_segment_ptr 1
		.amdhsa_user_sgpr_dispatch_id 0
		.amdhsa_user_sgpr_kernarg_preload_length 0
		.amdhsa_user_sgpr_kernarg_preload_offset 0
		.amdhsa_user_sgpr_private_segment_size 0
		.amdhsa_wavefront_size32 1
		.amdhsa_uses_dynamic_stack 0
		.amdhsa_enable_private_segment 0
		.amdhsa_system_sgpr_workgroup_id_x 1
		.amdhsa_system_sgpr_workgroup_id_y 0
		.amdhsa_system_sgpr_workgroup_id_z 0
		.amdhsa_system_sgpr_workgroup_info 0
		.amdhsa_system_vgpr_workitem_id 0
		.amdhsa_next_free_vgpr 24
		.amdhsa_next_free_sgpr 7
		.amdhsa_named_barrier_count 0
		.amdhsa_reserve_vcc 1
		.amdhsa_float_round_mode_32 0
		.amdhsa_float_round_mode_16_64 0
		.amdhsa_float_denorm_mode_32 3
		.amdhsa_float_denorm_mode_16_64 3
		.amdhsa_fp16_overflow 0
		.amdhsa_memory_ordered 1
		.amdhsa_forward_progress 1
		.amdhsa_inst_pref_size 3
		.amdhsa_round_robin_scheduling 0
		.amdhsa_exception_fp_ieee_invalid_op 0
		.amdhsa_exception_fp_denorm_src 0
		.amdhsa_exception_fp_ieee_div_zero 0
		.amdhsa_exception_fp_ieee_overflow 0
		.amdhsa_exception_fp_ieee_underflow 0
		.amdhsa_exception_fp_ieee_inexact 0
		.amdhsa_exception_int_div_zero 0
	.end_amdhsa_kernel
	.section	.text._Z6kernelI2upN15benchmark_utils11custom_typeIffEELj256ELj8ELj100EEvPKT0_PS4_,"axG",@progbits,_Z6kernelI2upN15benchmark_utils11custom_typeIffEELj256ELj8ELj100EEvPKT0_PS4_,comdat
.Lfunc_end47:
	.size	_Z6kernelI2upN15benchmark_utils11custom_typeIffEELj256ELj8ELj100EEvPKT0_PS4_, .Lfunc_end47-_Z6kernelI2upN15benchmark_utils11custom_typeIffEELj256ELj8ELj100EEvPKT0_PS4_
                                        ; -- End function
	.set _Z6kernelI2upN15benchmark_utils11custom_typeIffEELj256ELj8ELj100EEvPKT0_PS4_.num_vgpr, 24
	.set _Z6kernelI2upN15benchmark_utils11custom_typeIffEELj256ELj8ELj100EEvPKT0_PS4_.num_agpr, 0
	.set _Z6kernelI2upN15benchmark_utils11custom_typeIffEELj256ELj8ELj100EEvPKT0_PS4_.numbered_sgpr, 7
	.set _Z6kernelI2upN15benchmark_utils11custom_typeIffEELj256ELj8ELj100EEvPKT0_PS4_.num_named_barrier, 0
	.set _Z6kernelI2upN15benchmark_utils11custom_typeIffEELj256ELj8ELj100EEvPKT0_PS4_.private_seg_size, 0
	.set _Z6kernelI2upN15benchmark_utils11custom_typeIffEELj256ELj8ELj100EEvPKT0_PS4_.uses_vcc, 1
	.set _Z6kernelI2upN15benchmark_utils11custom_typeIffEELj256ELj8ELj100EEvPKT0_PS4_.uses_flat_scratch, 0
	.set _Z6kernelI2upN15benchmark_utils11custom_typeIffEELj256ELj8ELj100EEvPKT0_PS4_.has_dyn_sized_stack, 0
	.set _Z6kernelI2upN15benchmark_utils11custom_typeIffEELj256ELj8ELj100EEvPKT0_PS4_.has_recursion, 0
	.set _Z6kernelI2upN15benchmark_utils11custom_typeIffEELj256ELj8ELj100EEvPKT0_PS4_.has_indirect_call, 0
	.section	.AMDGPU.csdata,"",@progbits
; Kernel info:
; codeLenInByte = 324
; TotalNumSgprs: 9
; NumVgprs: 24
; ScratchSize: 0
; MemoryBound: 1
; FloatMode: 240
; IeeeMode: 1
; LDSByteSize: 2048 bytes/workgroup (compile time only)
; SGPRBlocks: 0
; VGPRBlocks: 1
; NumSGPRsForWavesPerEU: 9
; NumVGPRsForWavesPerEU: 24
; NamedBarCnt: 0
; Occupancy: 16
; WaveLimiterHint : 0
; COMPUTE_PGM_RSRC2:SCRATCH_EN: 0
; COMPUTE_PGM_RSRC2:USER_SGPR: 2
; COMPUTE_PGM_RSRC2:TRAP_HANDLER: 0
; COMPUTE_PGM_RSRC2:TGID_X_EN: 1
; COMPUTE_PGM_RSRC2:TGID_Y_EN: 0
; COMPUTE_PGM_RSRC2:TGID_Z_EN: 0
; COMPUTE_PGM_RSRC2:TIDIG_COMP_CNT: 0
	.section	.text._Z6kernelI2upN15benchmark_utils11custom_typeIffEELj256ELj16ELj100EEvPKT0_PS4_,"axG",@progbits,_Z6kernelI2upN15benchmark_utils11custom_typeIffEELj256ELj16ELj100EEvPKT0_PS4_,comdat
	.protected	_Z6kernelI2upN15benchmark_utils11custom_typeIffEELj256ELj16ELj100EEvPKT0_PS4_ ; -- Begin function _Z6kernelI2upN15benchmark_utils11custom_typeIffEELj256ELj16ELj100EEvPKT0_PS4_
	.globl	_Z6kernelI2upN15benchmark_utils11custom_typeIffEELj256ELj16ELj100EEvPKT0_PS4_
	.p2align	8
	.type	_Z6kernelI2upN15benchmark_utils11custom_typeIffEELj256ELj16ELj100EEvPKT0_PS4_,@function
_Z6kernelI2upN15benchmark_utils11custom_typeIffEELj256ELj16ELj100EEvPKT0_PS4_: ; @_Z6kernelI2upN15benchmark_utils11custom_typeIffEELj256ELj16ELj100EEvPKT0_PS4_
; %bb.0:
	s_load_b128 s[0:3], s[0:1], 0x0
	s_bfe_u32 s4, ttmp6, 0x4000c
	s_and_b32 s5, ttmp6, 15
	s_add_co_i32 s4, s4, 1
	s_getreg_b32 s6, hwreg(HW_REG_IB_STS2, 6, 4)
	s_mul_i32 s4, ttmp9, s4
	v_dual_lshlrev_b32 v1, 4, v0 :: v_dual_mov_b32 v35, 0
	s_add_co_i32 s5, s5, s4
	s_cmp_eq_u32 s6, 0
	v_cmp_ne_u32_e32 vcc_lo, 0, v0
	s_cselect_b32 s4, ttmp9, s5
	s_delay_alu instid0(SALU_CYCLE_1) | instskip(SKIP_1) | instid1(VALU_DEP_1)
	v_lshl_or_b32 v34, s4, 12, v1
	s_wait_kmcnt 0x0
	v_lshl_add_u64 v[36:37], v[34:35], 3, s[0:1]
	s_movk_i32 s0, 0x64
	s_clause 0x7
	global_load_b128 v[2:5], v[36:37], off offset:48
	global_load_b128 v[6:9], v[36:37], off offset:32
	;; [unrolled: 1-line block ×3, first 2 shown]
	global_load_b128 v[14:17], v[36:37], off
	global_load_b128 v[18:21], v[36:37], off offset:112
	global_load_b128 v[22:25], v[36:37], off offset:96
	;; [unrolled: 1-line block ×4, first 2 shown]
	s_wait_xcnt 0x0
	v_lshlrev_b32_e32 v36, 3, v0
	s_delay_alu instid0(VALU_DEP_1)
	v_add_nc_u32_e32 v37, -8, v36
.LBB48_1:                               ; =>This Inner Loop Header: Depth=1
	s_wait_loadcnt 0x3
	v_mov_b64_e32 v[0:1], v[18:19]
	s_wait_loadcnt 0x2
	v_mov_b64_e32 v[18:19], v[24:25]
	v_mov_b64_e32 v[24:25], v[22:23]
	s_wait_loadcnt 0x1
	v_mov_b64_e32 v[22:23], v[28:29]
	;; [unrolled: 3-line block ×3, first 2 shown]
	v_mov_b64_e32 v[32:33], v[30:31]
	v_mov_b64_e32 v[30:31], v[4:5]
	;; [unrolled: 1-line block ×9, first 2 shown]
	ds_store_2addr_b32 v36, v20, v21 offset1:1
	s_wait_dscnt 0x0
	s_barrier_signal -1
	s_barrier_wait -1
	s_and_saveexec_b32 s1, vcc_lo
; %bb.2:                                ;   in Loop: Header=BB48_1 Depth=1
	ds_load_2addr_b32 v[14:15], v37 offset1:1
; %bb.3:                                ;   in Loop: Header=BB48_1 Depth=1
	s_or_b32 exec_lo, exec_lo, s1
	s_add_co_i32 s0, s0, -1
	s_wait_dscnt 0x0
	s_cmp_lg_u32 s0, 0
	s_barrier_signal -1
	s_barrier_wait -1
	s_cbranch_scc0 .LBB48_5
; %bb.4:                                ;   in Loop: Header=BB48_1 Depth=1
	v_mov_b64_e32 v[20:21], v[0:1]
	s_branch .LBB48_1
.LBB48_5:
	v_lshl_add_u64 v[34:35], v[34:35], 3, s[2:3]
	v_dual_mov_b32 v20, v0 :: v_dual_mov_b32 v21, v1
	s_clause 0x7
	global_store_b128 v[34:35], v[14:17], off
	global_store_b128 v[34:35], v[10:13], off offset:16
	global_store_b128 v[34:35], v[6:9], off offset:32
	;; [unrolled: 1-line block ×7, first 2 shown]
	s_endpgm
	.section	.rodata,"a",@progbits
	.p2align	6, 0x0
	.amdhsa_kernel _Z6kernelI2upN15benchmark_utils11custom_typeIffEELj256ELj16ELj100EEvPKT0_PS4_
		.amdhsa_group_segment_fixed_size 2048
		.amdhsa_private_segment_fixed_size 0
		.amdhsa_kernarg_size 16
		.amdhsa_user_sgpr_count 2
		.amdhsa_user_sgpr_dispatch_ptr 0
		.amdhsa_user_sgpr_queue_ptr 0
		.amdhsa_user_sgpr_kernarg_segment_ptr 1
		.amdhsa_user_sgpr_dispatch_id 0
		.amdhsa_user_sgpr_kernarg_preload_length 0
		.amdhsa_user_sgpr_kernarg_preload_offset 0
		.amdhsa_user_sgpr_private_segment_size 0
		.amdhsa_wavefront_size32 1
		.amdhsa_uses_dynamic_stack 0
		.amdhsa_enable_private_segment 0
		.amdhsa_system_sgpr_workgroup_id_x 1
		.amdhsa_system_sgpr_workgroup_id_y 0
		.amdhsa_system_sgpr_workgroup_id_z 0
		.amdhsa_system_sgpr_workgroup_info 0
		.amdhsa_system_vgpr_workitem_id 0
		.amdhsa_next_free_vgpr 38
		.amdhsa_next_free_sgpr 7
		.amdhsa_named_barrier_count 0
		.amdhsa_reserve_vcc 1
		.amdhsa_float_round_mode_32 0
		.amdhsa_float_round_mode_16_64 0
		.amdhsa_float_denorm_mode_32 3
		.amdhsa_float_denorm_mode_16_64 3
		.amdhsa_fp16_overflow 0
		.amdhsa_memory_ordered 1
		.amdhsa_forward_progress 1
		.amdhsa_inst_pref_size 4
		.amdhsa_round_robin_scheduling 0
		.amdhsa_exception_fp_ieee_invalid_op 0
		.amdhsa_exception_fp_denorm_src 0
		.amdhsa_exception_fp_ieee_div_zero 0
		.amdhsa_exception_fp_ieee_overflow 0
		.amdhsa_exception_fp_ieee_underflow 0
		.amdhsa_exception_fp_ieee_inexact 0
		.amdhsa_exception_int_div_zero 0
	.end_amdhsa_kernel
	.section	.text._Z6kernelI2upN15benchmark_utils11custom_typeIffEELj256ELj16ELj100EEvPKT0_PS4_,"axG",@progbits,_Z6kernelI2upN15benchmark_utils11custom_typeIffEELj256ELj16ELj100EEvPKT0_PS4_,comdat
.Lfunc_end48:
	.size	_Z6kernelI2upN15benchmark_utils11custom_typeIffEELj256ELj16ELj100EEvPKT0_PS4_, .Lfunc_end48-_Z6kernelI2upN15benchmark_utils11custom_typeIffEELj256ELj16ELj100EEvPKT0_PS4_
                                        ; -- End function
	.set _Z6kernelI2upN15benchmark_utils11custom_typeIffEELj256ELj16ELj100EEvPKT0_PS4_.num_vgpr, 38
	.set _Z6kernelI2upN15benchmark_utils11custom_typeIffEELj256ELj16ELj100EEvPKT0_PS4_.num_agpr, 0
	.set _Z6kernelI2upN15benchmark_utils11custom_typeIffEELj256ELj16ELj100EEvPKT0_PS4_.numbered_sgpr, 7
	.set _Z6kernelI2upN15benchmark_utils11custom_typeIffEELj256ELj16ELj100EEvPKT0_PS4_.num_named_barrier, 0
	.set _Z6kernelI2upN15benchmark_utils11custom_typeIffEELj256ELj16ELj100EEvPKT0_PS4_.private_seg_size, 0
	.set _Z6kernelI2upN15benchmark_utils11custom_typeIffEELj256ELj16ELj100EEvPKT0_PS4_.uses_vcc, 1
	.set _Z6kernelI2upN15benchmark_utils11custom_typeIffEELj256ELj16ELj100EEvPKT0_PS4_.uses_flat_scratch, 0
	.set _Z6kernelI2upN15benchmark_utils11custom_typeIffEELj256ELj16ELj100EEvPKT0_PS4_.has_dyn_sized_stack, 0
	.set _Z6kernelI2upN15benchmark_utils11custom_typeIffEELj256ELj16ELj100EEvPKT0_PS4_.has_recursion, 0
	.set _Z6kernelI2upN15benchmark_utils11custom_typeIffEELj256ELj16ELj100EEvPKT0_PS4_.has_indirect_call, 0
	.section	.AMDGPU.csdata,"",@progbits
; Kernel info:
; codeLenInByte = 468
; TotalNumSgprs: 9
; NumVgprs: 38
; ScratchSize: 0
; MemoryBound: 1
; FloatMode: 240
; IeeeMode: 1
; LDSByteSize: 2048 bytes/workgroup (compile time only)
; SGPRBlocks: 0
; VGPRBlocks: 2
; NumSGPRsForWavesPerEU: 9
; NumVGPRsForWavesPerEU: 38
; NamedBarCnt: 0
; Occupancy: 16
; WaveLimiterHint : 0
; COMPUTE_PGM_RSRC2:SCRATCH_EN: 0
; COMPUTE_PGM_RSRC2:USER_SGPR: 2
; COMPUTE_PGM_RSRC2:TRAP_HANDLER: 0
; COMPUTE_PGM_RSRC2:TGID_X_EN: 1
; COMPUTE_PGM_RSRC2:TGID_Y_EN: 0
; COMPUTE_PGM_RSRC2:TGID_Z_EN: 0
; COMPUTE_PGM_RSRC2:TIDIG_COMP_CNT: 0
	.section	.text._Z6kernelI2upN15benchmark_utils11custom_typeIffEELj256ELj32ELj100EEvPKT0_PS4_,"axG",@progbits,_Z6kernelI2upN15benchmark_utils11custom_typeIffEELj256ELj32ELj100EEvPKT0_PS4_,comdat
	.protected	_Z6kernelI2upN15benchmark_utils11custom_typeIffEELj256ELj32ELj100EEvPKT0_PS4_ ; -- Begin function _Z6kernelI2upN15benchmark_utils11custom_typeIffEELj256ELj32ELj100EEvPKT0_PS4_
	.globl	_Z6kernelI2upN15benchmark_utils11custom_typeIffEELj256ELj32ELj100EEvPKT0_PS4_
	.p2align	8
	.type	_Z6kernelI2upN15benchmark_utils11custom_typeIffEELj256ELj32ELj100EEvPKT0_PS4_,@function
_Z6kernelI2upN15benchmark_utils11custom_typeIffEELj256ELj32ELj100EEvPKT0_PS4_: ; @_Z6kernelI2upN15benchmark_utils11custom_typeIffEELj256ELj32ELj100EEvPKT0_PS4_
; %bb.0:
	s_load_b128 s[0:3], s[0:1], 0x0
	s_bfe_u32 s4, ttmp6, 0x4000c
	s_and_b32 s5, ttmp6, 15
	s_add_co_i32 s4, s4, 1
	s_getreg_b32 s6, hwreg(HW_REG_IB_STS2, 6, 4)
	s_mul_i32 s4, ttmp9, s4
	v_dual_lshlrev_b32 v1, 5, v0 :: v_dual_mov_b32 v67, 0
	s_add_co_i32 s5, s5, s4
	s_cmp_eq_u32 s6, 0
	v_lshlrev_b32_e32 v68, 3, v0
	s_cselect_b32 s4, ttmp9, s5
	v_cmp_ne_u32_e32 vcc_lo, 0, v0
	v_lshl_or_b32 v66, s4, 13, v1
	s_delay_alu instid0(VALU_DEP_3) | instskip(SKIP_1) | instid1(VALU_DEP_2)
	v_add_nc_u32_e32 v69, -8, v68
	s_wait_kmcnt 0x0
	v_lshl_add_u64 v[22:23], v[66:67], 3, s[0:1]
	s_movk_i32 s0, 0x64
	s_clause 0xf
	global_load_b128 v[46:49], v[22:23], off offset:48
	global_load_b128 v[54:57], v[22:23], off offset:32
	;; [unrolled: 1-line block ×3, first 2 shown]
	global_load_b128 v[62:65], v[22:23], off
	global_load_b128 v[30:33], v[22:23], off offset:112
	global_load_b128 v[38:41], v[22:23], off offset:96
	global_load_b128 v[42:45], v[22:23], off offset:80
	global_load_b128 v[50:53], v[22:23], off offset:64
	global_load_b128 v[2:5], v[22:23], off offset:176
	global_load_b128 v[6:9], v[22:23], off offset:160
	global_load_b128 v[26:29], v[22:23], off offset:144
	global_load_b128 v[34:37], v[22:23], off offset:128
	global_load_b128 v[10:13], v[22:23], off offset:240
	global_load_b128 v[14:17], v[22:23], off offset:224
	global_load_b128 v[18:21], v[22:23], off offset:208
	global_load_b128 v[22:25], v[22:23], off offset:192
.LBB49_1:                               ; =>This Inner Loop Header: Depth=1
	s_wait_loadcnt 0x3
	v_mov_b64_e32 v[0:1], v[10:11]
	s_wait_loadcnt 0x2
	v_mov_b64_e32 v[10:11], v[16:17]
	v_mov_b64_e32 v[16:17], v[14:15]
	s_wait_loadcnt 0x1
	v_mov_b64_e32 v[14:15], v[20:21]
	;; [unrolled: 3-line block ×3, first 2 shown]
	v_mov_b64_e32 v[24:25], v[22:23]
	v_mov_b64_e32 v[22:23], v[4:5]
	;; [unrolled: 1-line block ×25, first 2 shown]
	ds_store_2addr_b32 v68, v12, v13 offset1:1
	s_wait_dscnt 0x0
	s_barrier_signal -1
	s_barrier_wait -1
	s_and_saveexec_b32 s1, vcc_lo
; %bb.2:                                ;   in Loop: Header=BB49_1 Depth=1
	ds_load_2addr_b32 v[62:63], v69 offset1:1
; %bb.3:                                ;   in Loop: Header=BB49_1 Depth=1
	s_or_b32 exec_lo, exec_lo, s1
	s_add_co_i32 s0, s0, -1
	s_wait_dscnt 0x0
	s_cmp_lg_u32 s0, 0
	s_barrier_signal -1
	s_barrier_wait -1
	s_cbranch_scc0 .LBB49_5
; %bb.4:                                ;   in Loop: Header=BB49_1 Depth=1
	v_mov_b64_e32 v[12:13], v[0:1]
	s_branch .LBB49_1
.LBB49_5:
	v_lshl_add_u64 v[66:67], v[66:67], 3, s[2:3]
	v_dual_mov_b32 v12, v0 :: v_dual_mov_b32 v13, v1
	s_clause 0xf
	global_store_b128 v[66:67], v[62:65], off
	global_store_b128 v[66:67], v[58:61], off offset:16
	global_store_b128 v[66:67], v[54:57], off offset:32
	;; [unrolled: 1-line block ×15, first 2 shown]
	s_sendmsg sendmsg(MSG_DEALLOC_VGPRS)
	s_endpgm
	.section	.rodata,"a",@progbits
	.p2align	6, 0x0
	.amdhsa_kernel _Z6kernelI2upN15benchmark_utils11custom_typeIffEELj256ELj32ELj100EEvPKT0_PS4_
		.amdhsa_group_segment_fixed_size 2048
		.amdhsa_private_segment_fixed_size 0
		.amdhsa_kernarg_size 16
		.amdhsa_user_sgpr_count 2
		.amdhsa_user_sgpr_dispatch_ptr 0
		.amdhsa_user_sgpr_queue_ptr 0
		.amdhsa_user_sgpr_kernarg_segment_ptr 1
		.amdhsa_user_sgpr_dispatch_id 0
		.amdhsa_user_sgpr_kernarg_preload_length 0
		.amdhsa_user_sgpr_kernarg_preload_offset 0
		.amdhsa_user_sgpr_private_segment_size 0
		.amdhsa_wavefront_size32 1
		.amdhsa_uses_dynamic_stack 0
		.amdhsa_enable_private_segment 0
		.amdhsa_system_sgpr_workgroup_id_x 1
		.amdhsa_system_sgpr_workgroup_id_y 0
		.amdhsa_system_sgpr_workgroup_id_z 0
		.amdhsa_system_sgpr_workgroup_info 0
		.amdhsa_system_vgpr_workitem_id 0
		.amdhsa_next_free_vgpr 70
		.amdhsa_next_free_sgpr 7
		.amdhsa_named_barrier_count 0
		.amdhsa_reserve_vcc 1
		.amdhsa_float_round_mode_32 0
		.amdhsa_float_round_mode_16_64 0
		.amdhsa_float_denorm_mode_32 3
		.amdhsa_float_denorm_mode_16_64 3
		.amdhsa_fp16_overflow 0
		.amdhsa_memory_ordered 1
		.amdhsa_forward_progress 1
		.amdhsa_inst_pref_size 6
		.amdhsa_round_robin_scheduling 0
		.amdhsa_exception_fp_ieee_invalid_op 0
		.amdhsa_exception_fp_denorm_src 0
		.amdhsa_exception_fp_ieee_div_zero 0
		.amdhsa_exception_fp_ieee_overflow 0
		.amdhsa_exception_fp_ieee_underflow 0
		.amdhsa_exception_fp_ieee_inexact 0
		.amdhsa_exception_int_div_zero 0
	.end_amdhsa_kernel
	.section	.text._Z6kernelI2upN15benchmark_utils11custom_typeIffEELj256ELj32ELj100EEvPKT0_PS4_,"axG",@progbits,_Z6kernelI2upN15benchmark_utils11custom_typeIffEELj256ELj32ELj100EEvPKT0_PS4_,comdat
.Lfunc_end49:
	.size	_Z6kernelI2upN15benchmark_utils11custom_typeIffEELj256ELj32ELj100EEvPKT0_PS4_, .Lfunc_end49-_Z6kernelI2upN15benchmark_utils11custom_typeIffEELj256ELj32ELj100EEvPKT0_PS4_
                                        ; -- End function
	.set _Z6kernelI2upN15benchmark_utils11custom_typeIffEELj256ELj32ELj100EEvPKT0_PS4_.num_vgpr, 70
	.set _Z6kernelI2upN15benchmark_utils11custom_typeIffEELj256ELj32ELj100EEvPKT0_PS4_.num_agpr, 0
	.set _Z6kernelI2upN15benchmark_utils11custom_typeIffEELj256ELj32ELj100EEvPKT0_PS4_.numbered_sgpr, 7
	.set _Z6kernelI2upN15benchmark_utils11custom_typeIffEELj256ELj32ELj100EEvPKT0_PS4_.num_named_barrier, 0
	.set _Z6kernelI2upN15benchmark_utils11custom_typeIffEELj256ELj32ELj100EEvPKT0_PS4_.private_seg_size, 0
	.set _Z6kernelI2upN15benchmark_utils11custom_typeIffEELj256ELj32ELj100EEvPKT0_PS4_.uses_vcc, 1
	.set _Z6kernelI2upN15benchmark_utils11custom_typeIffEELj256ELj32ELj100EEvPKT0_PS4_.uses_flat_scratch, 0
	.set _Z6kernelI2upN15benchmark_utils11custom_typeIffEELj256ELj32ELj100EEvPKT0_PS4_.has_dyn_sized_stack, 0
	.set _Z6kernelI2upN15benchmark_utils11custom_typeIffEELj256ELj32ELj100EEvPKT0_PS4_.has_recursion, 0
	.set _Z6kernelI2upN15benchmark_utils11custom_typeIffEELj256ELj32ELj100EEvPKT0_PS4_.has_indirect_call, 0
	.section	.AMDGPU.csdata,"",@progbits
; Kernel info:
; codeLenInByte = 720
; TotalNumSgprs: 9
; NumVgprs: 70
; ScratchSize: 0
; MemoryBound: 1
; FloatMode: 240
; IeeeMode: 1
; LDSByteSize: 2048 bytes/workgroup (compile time only)
; SGPRBlocks: 0
; VGPRBlocks: 4
; NumSGPRsForWavesPerEU: 9
; NumVGPRsForWavesPerEU: 70
; NamedBarCnt: 0
; Occupancy: 12
; WaveLimiterHint : 0
; COMPUTE_PGM_RSRC2:SCRATCH_EN: 0
; COMPUTE_PGM_RSRC2:USER_SGPR: 2
; COMPUTE_PGM_RSRC2:TRAP_HANDLER: 0
; COMPUTE_PGM_RSRC2:TGID_X_EN: 1
; COMPUTE_PGM_RSRC2:TGID_Y_EN: 0
; COMPUTE_PGM_RSRC2:TGID_Z_EN: 0
; COMPUTE_PGM_RSRC2:TIDIG_COMP_CNT: 0
	.section	.text._Z6kernelI2upN15benchmark_utils11custom_typeIddEELj256ELj1ELj100EEvPKT0_PS4_,"axG",@progbits,_Z6kernelI2upN15benchmark_utils11custom_typeIddEELj256ELj1ELj100EEvPKT0_PS4_,comdat
	.protected	_Z6kernelI2upN15benchmark_utils11custom_typeIddEELj256ELj1ELj100EEvPKT0_PS4_ ; -- Begin function _Z6kernelI2upN15benchmark_utils11custom_typeIddEELj256ELj1ELj100EEvPKT0_PS4_
	.globl	_Z6kernelI2upN15benchmark_utils11custom_typeIddEELj256ELj1ELj100EEvPKT0_PS4_
	.p2align	8
	.type	_Z6kernelI2upN15benchmark_utils11custom_typeIddEELj256ELj1ELj100EEvPKT0_PS4_,@function
_Z6kernelI2upN15benchmark_utils11custom_typeIddEELj256ELj1ELj100EEvPKT0_PS4_: ; @_Z6kernelI2upN15benchmark_utils11custom_typeIddEELj256ELj1ELj100EEvPKT0_PS4_
; %bb.0:
	s_load_b128 s[0:3], s[0:1], 0x0
	s_bfe_u32 s4, ttmp6, 0x4000c
	s_and_b32 s5, ttmp6, 15
	s_add_co_i32 s4, s4, 1
	s_getreg_b32 s6, hwreg(HW_REG_IB_STS2, 6, 4)
	s_mul_i32 s4, ttmp9, s4
	v_dual_lshlrev_b32 v1, 4, v0 :: v_dual_mov_b32 v7, 0
	s_add_co_i32 s5, s5, s4
	s_cmp_eq_u32 s6, 0
	v_cmp_ne_u32_e32 vcc_lo, 0, v0
	s_cselect_b32 s4, ttmp9, s5
	s_delay_alu instid0(SALU_CYCLE_1)
	v_lshl_or_b32 v6, s4, 8, v0
	v_add_nc_u32_e32 v0, -16, v1
	s_wait_kmcnt 0x0
	global_load_b128 v[2:5], v6, s[0:1] scale_offset
	s_wait_xcnt 0x0
	s_movk_i32 s0, 0x64
	s_branch .LBB50_2
.LBB50_1:                               ;   in Loop: Header=BB50_2 Depth=1
	s_or_b32 exec_lo, exec_lo, s1
	s_add_co_i32 s0, s0, -1
	s_wait_dscnt 0x0
	s_cmp_lg_u32 s0, 0
	s_barrier_signal -1
	s_barrier_wait -1
	s_cbranch_scc0 .LBB50_4
.LBB50_2:                               ; =>This Inner Loop Header: Depth=1
	s_wait_loadcnt 0x0
	ds_store_2addr_b64 v1, v[2:3], v[4:5] offset1:1
	s_wait_dscnt 0x0
	s_barrier_signal -1
	s_barrier_wait -1
	s_and_saveexec_b32 s1, vcc_lo
	s_cbranch_execz .LBB50_1
; %bb.3:                                ;   in Loop: Header=BB50_2 Depth=1
	ds_load_2addr_b64 v[2:5], v0 offset1:1
	s_branch .LBB50_1
.LBB50_4:
	v_lshl_add_u64 v[0:1], v[6:7], 4, s[2:3]
	global_store_b128 v[0:1], v[2:5], off
	s_endpgm
	.section	.rodata,"a",@progbits
	.p2align	6, 0x0
	.amdhsa_kernel _Z6kernelI2upN15benchmark_utils11custom_typeIddEELj256ELj1ELj100EEvPKT0_PS4_
		.amdhsa_group_segment_fixed_size 4096
		.amdhsa_private_segment_fixed_size 0
		.amdhsa_kernarg_size 16
		.amdhsa_user_sgpr_count 2
		.amdhsa_user_sgpr_dispatch_ptr 0
		.amdhsa_user_sgpr_queue_ptr 0
		.amdhsa_user_sgpr_kernarg_segment_ptr 1
		.amdhsa_user_sgpr_dispatch_id 0
		.amdhsa_user_sgpr_kernarg_preload_length 0
		.amdhsa_user_sgpr_kernarg_preload_offset 0
		.amdhsa_user_sgpr_private_segment_size 0
		.amdhsa_wavefront_size32 1
		.amdhsa_uses_dynamic_stack 0
		.amdhsa_enable_private_segment 0
		.amdhsa_system_sgpr_workgroup_id_x 1
		.amdhsa_system_sgpr_workgroup_id_y 0
		.amdhsa_system_sgpr_workgroup_id_z 0
		.amdhsa_system_sgpr_workgroup_info 0
		.amdhsa_system_vgpr_workitem_id 0
		.amdhsa_next_free_vgpr 8
		.amdhsa_next_free_sgpr 7
		.amdhsa_named_barrier_count 0
		.amdhsa_reserve_vcc 1
		.amdhsa_float_round_mode_32 0
		.amdhsa_float_round_mode_16_64 0
		.amdhsa_float_denorm_mode_32 3
		.amdhsa_float_denorm_mode_16_64 3
		.amdhsa_fp16_overflow 0
		.amdhsa_memory_ordered 1
		.amdhsa_forward_progress 1
		.amdhsa_inst_pref_size 2
		.amdhsa_round_robin_scheduling 0
		.amdhsa_exception_fp_ieee_invalid_op 0
		.amdhsa_exception_fp_denorm_src 0
		.amdhsa_exception_fp_ieee_div_zero 0
		.amdhsa_exception_fp_ieee_overflow 0
		.amdhsa_exception_fp_ieee_underflow 0
		.amdhsa_exception_fp_ieee_inexact 0
		.amdhsa_exception_int_div_zero 0
	.end_amdhsa_kernel
	.section	.text._Z6kernelI2upN15benchmark_utils11custom_typeIddEELj256ELj1ELj100EEvPKT0_PS4_,"axG",@progbits,_Z6kernelI2upN15benchmark_utils11custom_typeIddEELj256ELj1ELj100EEvPKT0_PS4_,comdat
.Lfunc_end50:
	.size	_Z6kernelI2upN15benchmark_utils11custom_typeIddEELj256ELj1ELj100EEvPKT0_PS4_, .Lfunc_end50-_Z6kernelI2upN15benchmark_utils11custom_typeIddEELj256ELj1ELj100EEvPKT0_PS4_
                                        ; -- End function
	.set _Z6kernelI2upN15benchmark_utils11custom_typeIddEELj256ELj1ELj100EEvPKT0_PS4_.num_vgpr, 8
	.set _Z6kernelI2upN15benchmark_utils11custom_typeIddEELj256ELj1ELj100EEvPKT0_PS4_.num_agpr, 0
	.set _Z6kernelI2upN15benchmark_utils11custom_typeIddEELj256ELj1ELj100EEvPKT0_PS4_.numbered_sgpr, 7
	.set _Z6kernelI2upN15benchmark_utils11custom_typeIddEELj256ELj1ELj100EEvPKT0_PS4_.num_named_barrier, 0
	.set _Z6kernelI2upN15benchmark_utils11custom_typeIddEELj256ELj1ELj100EEvPKT0_PS4_.private_seg_size, 0
	.set _Z6kernelI2upN15benchmark_utils11custom_typeIddEELj256ELj1ELj100EEvPKT0_PS4_.uses_vcc, 1
	.set _Z6kernelI2upN15benchmark_utils11custom_typeIddEELj256ELj1ELj100EEvPKT0_PS4_.uses_flat_scratch, 0
	.set _Z6kernelI2upN15benchmark_utils11custom_typeIddEELj256ELj1ELj100EEvPKT0_PS4_.has_dyn_sized_stack, 0
	.set _Z6kernelI2upN15benchmark_utils11custom_typeIddEELj256ELj1ELj100EEvPKT0_PS4_.has_recursion, 0
	.set _Z6kernelI2upN15benchmark_utils11custom_typeIddEELj256ELj1ELj100EEvPKT0_PS4_.has_indirect_call, 0
	.section	.AMDGPU.csdata,"",@progbits
; Kernel info:
; codeLenInByte = 200
; TotalNumSgprs: 9
; NumVgprs: 8
; ScratchSize: 0
; MemoryBound: 0
; FloatMode: 240
; IeeeMode: 1
; LDSByteSize: 4096 bytes/workgroup (compile time only)
; SGPRBlocks: 0
; VGPRBlocks: 0
; NumSGPRsForWavesPerEU: 9
; NumVGPRsForWavesPerEU: 8
; NamedBarCnt: 0
; Occupancy: 16
; WaveLimiterHint : 0
; COMPUTE_PGM_RSRC2:SCRATCH_EN: 0
; COMPUTE_PGM_RSRC2:USER_SGPR: 2
; COMPUTE_PGM_RSRC2:TRAP_HANDLER: 0
; COMPUTE_PGM_RSRC2:TGID_X_EN: 1
; COMPUTE_PGM_RSRC2:TGID_Y_EN: 0
; COMPUTE_PGM_RSRC2:TGID_Z_EN: 0
; COMPUTE_PGM_RSRC2:TIDIG_COMP_CNT: 0
	.section	.text._Z6kernelI2upN15benchmark_utils11custom_typeIddEELj256ELj3ELj100EEvPKT0_PS4_,"axG",@progbits,_Z6kernelI2upN15benchmark_utils11custom_typeIddEELj256ELj3ELj100EEvPKT0_PS4_,comdat
	.protected	_Z6kernelI2upN15benchmark_utils11custom_typeIddEELj256ELj3ELj100EEvPKT0_PS4_ ; -- Begin function _Z6kernelI2upN15benchmark_utils11custom_typeIddEELj256ELj3ELj100EEvPKT0_PS4_
	.globl	_Z6kernelI2upN15benchmark_utils11custom_typeIddEELj256ELj3ELj100EEvPKT0_PS4_
	.p2align	8
	.type	_Z6kernelI2upN15benchmark_utils11custom_typeIddEELj256ELj3ELj100EEvPKT0_PS4_,@function
_Z6kernelI2upN15benchmark_utils11custom_typeIddEELj256ELj3ELj100EEvPKT0_PS4_: ; @_Z6kernelI2upN15benchmark_utils11custom_typeIddEELj256ELj3ELj100EEvPKT0_PS4_
; %bb.0:
	s_bfe_u32 s4, ttmp6, 0x4000c
	s_and_b32 s5, ttmp6, 15
	s_add_co_i32 s4, s4, 1
	s_load_b128 s[0:3], s[0:1], 0x0
	s_mul_i32 s4, ttmp9, s4
	s_getreg_b32 s6, hwreg(HW_REG_IB_STS2, 6, 4)
	s_add_co_i32 s5, s5, s4
	s_cmp_eq_u32 s6, 0
	v_mov_b32_e32 v19, 0
	s_cselect_b32 s4, ttmp9, s5
	v_cmp_ne_u32_e32 vcc_lo, 0, v0
	v_lshl_or_b32 v1, s4, 8, v0
	s_delay_alu instid0(VALU_DEP_1) | instskip(SKIP_1) | instid1(VALU_DEP_2)
	v_lshl_add_u32 v18, v1, 1, v1
	v_dual_lshlrev_b32 v1, 4, v0 :: v_dual_mov_b32 v21, v19
	v_dual_mov_b32 v23, v19 :: v_dual_add_nc_u32 v20, 1, v18
	s_delay_alu instid0(VALU_DEP_2)
	v_dual_add_nc_u32 v22, 2, v18 :: v_dual_add_nc_u32 v0, -16, v1
	s_wait_kmcnt 0x0
	s_clause 0x2
	global_load_b128 v[6:9], v18, s[0:1] scale_offset
	global_load_b128 v[2:5], v20, s[0:1] scale_offset
	;; [unrolled: 1-line block ×3, first 2 shown]
	s_wait_xcnt 0x0
	s_movk_i32 s0, 0x64
.LBB51_1:                               ; =>This Inner Loop Header: Depth=1
	s_wait_loadcnt 0x2
	s_delay_alu instid0(VALU_DEP_2) | instskip(NEXT) | instid1(VALU_DEP_2)
	v_mov_b64_e32 v[12:13], v[8:9]
	v_mov_b64_e32 v[10:11], v[6:7]
	s_wait_loadcnt 0x0
	ds_store_2addr_b64 v1, v[14:15], v[16:17] offset1:1
	s_wait_dscnt 0x0
	s_barrier_signal -1
	s_barrier_wait -1
	s_and_saveexec_b32 s1, vcc_lo
; %bb.2:                                ;   in Loop: Header=BB51_1 Depth=1
	ds_load_2addr_b64 v[10:13], v0 offset1:1
; %bb.3:                                ;   in Loop: Header=BB51_1 Depth=1
	s_or_b32 exec_lo, exec_lo, s1
	s_add_co_i32 s0, s0, -1
	s_wait_dscnt 0x0
	s_cmp_lg_u32 s0, 0
	s_barrier_signal -1
	s_barrier_wait -1
	s_cbranch_scc0 .LBB51_5
; %bb.4:                                ;   in Loop: Header=BB51_1 Depth=1
	v_mov_b64_e32 v[16:17], v[4:5]
	v_mov_b64_e32 v[14:15], v[2:3]
	;; [unrolled: 1-line block ×6, first 2 shown]
	s_branch .LBB51_1
.LBB51_5:
	v_lshl_add_u64 v[0:1], v[18:19], 4, s[2:3]
	v_lshl_add_u64 v[14:15], v[20:21], 4, s[2:3]
	v_lshl_add_u64 v[16:17], v[22:23], 4, s[2:3]
	s_clause 0x2
	global_store_b128 v[0:1], v[10:13], off
	global_store_b128 v[14:15], v[6:9], off
	;; [unrolled: 1-line block ×3, first 2 shown]
	s_endpgm
	.section	.rodata,"a",@progbits
	.p2align	6, 0x0
	.amdhsa_kernel _Z6kernelI2upN15benchmark_utils11custom_typeIddEELj256ELj3ELj100EEvPKT0_PS4_
		.amdhsa_group_segment_fixed_size 4096
		.amdhsa_private_segment_fixed_size 0
		.amdhsa_kernarg_size 16
		.amdhsa_user_sgpr_count 2
		.amdhsa_user_sgpr_dispatch_ptr 0
		.amdhsa_user_sgpr_queue_ptr 0
		.amdhsa_user_sgpr_kernarg_segment_ptr 1
		.amdhsa_user_sgpr_dispatch_id 0
		.amdhsa_user_sgpr_kernarg_preload_length 0
		.amdhsa_user_sgpr_kernarg_preload_offset 0
		.amdhsa_user_sgpr_private_segment_size 0
		.amdhsa_wavefront_size32 1
		.amdhsa_uses_dynamic_stack 0
		.amdhsa_enable_private_segment 0
		.amdhsa_system_sgpr_workgroup_id_x 1
		.amdhsa_system_sgpr_workgroup_id_y 0
		.amdhsa_system_sgpr_workgroup_id_z 0
		.amdhsa_system_sgpr_workgroup_info 0
		.amdhsa_system_vgpr_workitem_id 0
		.amdhsa_next_free_vgpr 24
		.amdhsa_next_free_sgpr 7
		.amdhsa_named_barrier_count 0
		.amdhsa_reserve_vcc 1
		.amdhsa_float_round_mode_32 0
		.amdhsa_float_round_mode_16_64 0
		.amdhsa_float_denorm_mode_32 3
		.amdhsa_float_denorm_mode_16_64 3
		.amdhsa_fp16_overflow 0
		.amdhsa_memory_ordered 1
		.amdhsa_forward_progress 1
		.amdhsa_inst_pref_size 3
		.amdhsa_round_robin_scheduling 0
		.amdhsa_exception_fp_ieee_invalid_op 0
		.amdhsa_exception_fp_denorm_src 0
		.amdhsa_exception_fp_ieee_div_zero 0
		.amdhsa_exception_fp_ieee_overflow 0
		.amdhsa_exception_fp_ieee_underflow 0
		.amdhsa_exception_fp_ieee_inexact 0
		.amdhsa_exception_int_div_zero 0
	.end_amdhsa_kernel
	.section	.text._Z6kernelI2upN15benchmark_utils11custom_typeIddEELj256ELj3ELj100EEvPKT0_PS4_,"axG",@progbits,_Z6kernelI2upN15benchmark_utils11custom_typeIddEELj256ELj3ELj100EEvPKT0_PS4_,comdat
.Lfunc_end51:
	.size	_Z6kernelI2upN15benchmark_utils11custom_typeIddEELj256ELj3ELj100EEvPKT0_PS4_, .Lfunc_end51-_Z6kernelI2upN15benchmark_utils11custom_typeIddEELj256ELj3ELj100EEvPKT0_PS4_
                                        ; -- End function
	.set _Z6kernelI2upN15benchmark_utils11custom_typeIddEELj256ELj3ELj100EEvPKT0_PS4_.num_vgpr, 24
	.set _Z6kernelI2upN15benchmark_utils11custom_typeIddEELj256ELj3ELj100EEvPKT0_PS4_.num_agpr, 0
	.set _Z6kernelI2upN15benchmark_utils11custom_typeIddEELj256ELj3ELj100EEvPKT0_PS4_.numbered_sgpr, 7
	.set _Z6kernelI2upN15benchmark_utils11custom_typeIddEELj256ELj3ELj100EEvPKT0_PS4_.num_named_barrier, 0
	.set _Z6kernelI2upN15benchmark_utils11custom_typeIddEELj256ELj3ELj100EEvPKT0_PS4_.private_seg_size, 0
	.set _Z6kernelI2upN15benchmark_utils11custom_typeIddEELj256ELj3ELj100EEvPKT0_PS4_.uses_vcc, 1
	.set _Z6kernelI2upN15benchmark_utils11custom_typeIddEELj256ELj3ELj100EEvPKT0_PS4_.uses_flat_scratch, 0
	.set _Z6kernelI2upN15benchmark_utils11custom_typeIddEELj256ELj3ELj100EEvPKT0_PS4_.has_dyn_sized_stack, 0
	.set _Z6kernelI2upN15benchmark_utils11custom_typeIddEELj256ELj3ELj100EEvPKT0_PS4_.has_recursion, 0
	.set _Z6kernelI2upN15benchmark_utils11custom_typeIddEELj256ELj3ELj100EEvPKT0_PS4_.has_indirect_call, 0
	.section	.AMDGPU.csdata,"",@progbits
; Kernel info:
; codeLenInByte = 336
; TotalNumSgprs: 9
; NumVgprs: 24
; ScratchSize: 0
; MemoryBound: 0
; FloatMode: 240
; IeeeMode: 1
; LDSByteSize: 4096 bytes/workgroup (compile time only)
; SGPRBlocks: 0
; VGPRBlocks: 1
; NumSGPRsForWavesPerEU: 9
; NumVGPRsForWavesPerEU: 24
; NamedBarCnt: 0
; Occupancy: 16
; WaveLimiterHint : 0
; COMPUTE_PGM_RSRC2:SCRATCH_EN: 0
; COMPUTE_PGM_RSRC2:USER_SGPR: 2
; COMPUTE_PGM_RSRC2:TRAP_HANDLER: 0
; COMPUTE_PGM_RSRC2:TGID_X_EN: 1
; COMPUTE_PGM_RSRC2:TGID_Y_EN: 0
; COMPUTE_PGM_RSRC2:TGID_Z_EN: 0
; COMPUTE_PGM_RSRC2:TIDIG_COMP_CNT: 0
	.section	.text._Z6kernelI2upN15benchmark_utils11custom_typeIddEELj256ELj4ELj100EEvPKT0_PS4_,"axG",@progbits,_Z6kernelI2upN15benchmark_utils11custom_typeIddEELj256ELj4ELj100EEvPKT0_PS4_,comdat
	.protected	_Z6kernelI2upN15benchmark_utils11custom_typeIddEELj256ELj4ELj100EEvPKT0_PS4_ ; -- Begin function _Z6kernelI2upN15benchmark_utils11custom_typeIddEELj256ELj4ELj100EEvPKT0_PS4_
	.globl	_Z6kernelI2upN15benchmark_utils11custom_typeIddEELj256ELj4ELj100EEvPKT0_PS4_
	.p2align	8
	.type	_Z6kernelI2upN15benchmark_utils11custom_typeIddEELj256ELj4ELj100EEvPKT0_PS4_,@function
_Z6kernelI2upN15benchmark_utils11custom_typeIddEELj256ELj4ELj100EEvPKT0_PS4_: ; @_Z6kernelI2upN15benchmark_utils11custom_typeIddEELj256ELj4ELj100EEvPKT0_PS4_
; %bb.0:
	s_load_b128 s[0:3], s[0:1], 0x0
	s_bfe_u32 s4, ttmp6, 0x4000c
	s_and_b32 s5, ttmp6, 15
	s_add_co_i32 s4, s4, 1
	s_getreg_b32 s6, hwreg(HW_REG_IB_STS2, 6, 4)
	s_mul_i32 s4, ttmp9, s4
	v_dual_lshlrev_b32 v1, 2, v0 :: v_dual_mov_b32 v23, 0
	s_add_co_i32 s5, s5, s4
	s_cmp_eq_u32 s6, 0
	v_cmp_ne_u32_e32 vcc_lo, 0, v0
	s_cselect_b32 s4, ttmp9, s5
	s_delay_alu instid0(SALU_CYCLE_1)
	v_lshl_or_b32 v22, s4, 10, v1
	v_lshlrev_b32_e32 v1, 4, v0
	s_wait_kmcnt 0x0
	s_clause 0x3
	global_load_b128 v[14:17], v22, s[0:1] offset:48 scale_offset
	global_load_b128 v[2:5], v22, s[0:1] offset:32 scale_offset
	;; [unrolled: 1-line block ×3, first 2 shown]
	global_load_b128 v[10:13], v22, s[0:1] scale_offset
	v_add_nc_u32_e32 v0, -16, v1
	s_wait_xcnt 0x0
	s_movk_i32 s0, 0x64
.LBB52_1:                               ; =>This Inner Loop Header: Depth=1
	s_wait_loadcnt 0x0
	s_delay_alu instid0(VALU_DEP_2) | instskip(NEXT) | instid1(VALU_DEP_2)
	v_mov_b64_e32 v[20:21], v[12:13]
	v_mov_b64_e32 v[18:19], v[10:11]
	ds_store_2addr_b64 v1, v[14:15], v[16:17] offset1:1
	s_wait_dscnt 0x0
	s_barrier_signal -1
	s_barrier_wait -1
	s_and_saveexec_b32 s1, vcc_lo
; %bb.2:                                ;   in Loop: Header=BB52_1 Depth=1
	ds_load_2addr_b64 v[18:21], v0 offset1:1
; %bb.3:                                ;   in Loop: Header=BB52_1 Depth=1
	s_or_b32 exec_lo, exec_lo, s1
	s_add_co_i32 s0, s0, -1
	s_wait_dscnt 0x0
	s_cmp_lg_u32 s0, 0
	s_barrier_signal -1
	s_barrier_wait -1
	s_cbranch_scc0 .LBB52_5
; %bb.4:                                ;   in Loop: Header=BB52_1 Depth=1
	v_mov_b64_e32 v[16:17], v[4:5]
	v_mov_b64_e32 v[14:15], v[2:3]
	;; [unrolled: 1-line block ×8, first 2 shown]
	s_branch .LBB52_1
.LBB52_5:
	v_lshl_add_u64 v[0:1], v[22:23], 4, s[2:3]
	s_clause 0x3
	global_store_b128 v[0:1], v[18:21], off
	global_store_b128 v[0:1], v[10:13], off offset:16
	global_store_b128 v[0:1], v[6:9], off offset:32
	;; [unrolled: 1-line block ×3, first 2 shown]
	s_endpgm
	.section	.rodata,"a",@progbits
	.p2align	6, 0x0
	.amdhsa_kernel _Z6kernelI2upN15benchmark_utils11custom_typeIddEELj256ELj4ELj100EEvPKT0_PS4_
		.amdhsa_group_segment_fixed_size 4096
		.amdhsa_private_segment_fixed_size 0
		.amdhsa_kernarg_size 16
		.amdhsa_user_sgpr_count 2
		.amdhsa_user_sgpr_dispatch_ptr 0
		.amdhsa_user_sgpr_queue_ptr 0
		.amdhsa_user_sgpr_kernarg_segment_ptr 1
		.amdhsa_user_sgpr_dispatch_id 0
		.amdhsa_user_sgpr_kernarg_preload_length 0
		.amdhsa_user_sgpr_kernarg_preload_offset 0
		.amdhsa_user_sgpr_private_segment_size 0
		.amdhsa_wavefront_size32 1
		.amdhsa_uses_dynamic_stack 0
		.amdhsa_enable_private_segment 0
		.amdhsa_system_sgpr_workgroup_id_x 1
		.amdhsa_system_sgpr_workgroup_id_y 0
		.amdhsa_system_sgpr_workgroup_id_z 0
		.amdhsa_system_sgpr_workgroup_info 0
		.amdhsa_system_vgpr_workitem_id 0
		.amdhsa_next_free_vgpr 24
		.amdhsa_next_free_sgpr 7
		.amdhsa_named_barrier_count 0
		.amdhsa_reserve_vcc 1
		.amdhsa_float_round_mode_32 0
		.amdhsa_float_round_mode_16_64 0
		.amdhsa_float_denorm_mode_32 3
		.amdhsa_float_denorm_mode_16_64 3
		.amdhsa_fp16_overflow 0
		.amdhsa_memory_ordered 1
		.amdhsa_forward_progress 1
		.amdhsa_inst_pref_size 3
		.amdhsa_round_robin_scheduling 0
		.amdhsa_exception_fp_ieee_invalid_op 0
		.amdhsa_exception_fp_denorm_src 0
		.amdhsa_exception_fp_ieee_div_zero 0
		.amdhsa_exception_fp_ieee_overflow 0
		.amdhsa_exception_fp_ieee_underflow 0
		.amdhsa_exception_fp_ieee_inexact 0
		.amdhsa_exception_int_div_zero 0
	.end_amdhsa_kernel
	.section	.text._Z6kernelI2upN15benchmark_utils11custom_typeIddEELj256ELj4ELj100EEvPKT0_PS4_,"axG",@progbits,_Z6kernelI2upN15benchmark_utils11custom_typeIddEELj256ELj4ELj100EEvPKT0_PS4_,comdat
.Lfunc_end52:
	.size	_Z6kernelI2upN15benchmark_utils11custom_typeIddEELj256ELj4ELj100EEvPKT0_PS4_, .Lfunc_end52-_Z6kernelI2upN15benchmark_utils11custom_typeIddEELj256ELj4ELj100EEvPKT0_PS4_
                                        ; -- End function
	.set _Z6kernelI2upN15benchmark_utils11custom_typeIddEELj256ELj4ELj100EEvPKT0_PS4_.num_vgpr, 24
	.set _Z6kernelI2upN15benchmark_utils11custom_typeIddEELj256ELj4ELj100EEvPKT0_PS4_.num_agpr, 0
	.set _Z6kernelI2upN15benchmark_utils11custom_typeIddEELj256ELj4ELj100EEvPKT0_PS4_.numbered_sgpr, 7
	.set _Z6kernelI2upN15benchmark_utils11custom_typeIddEELj256ELj4ELj100EEvPKT0_PS4_.num_named_barrier, 0
	.set _Z6kernelI2upN15benchmark_utils11custom_typeIddEELj256ELj4ELj100EEvPKT0_PS4_.private_seg_size, 0
	.set _Z6kernelI2upN15benchmark_utils11custom_typeIddEELj256ELj4ELj100EEvPKT0_PS4_.uses_vcc, 1
	.set _Z6kernelI2upN15benchmark_utils11custom_typeIddEELj256ELj4ELj100EEvPKT0_PS4_.uses_flat_scratch, 0
	.set _Z6kernelI2upN15benchmark_utils11custom_typeIddEELj256ELj4ELj100EEvPKT0_PS4_.has_dyn_sized_stack, 0
	.set _Z6kernelI2upN15benchmark_utils11custom_typeIddEELj256ELj4ELj100EEvPKT0_PS4_.has_recursion, 0
	.set _Z6kernelI2upN15benchmark_utils11custom_typeIddEELj256ELj4ELj100EEvPKT0_PS4_.has_indirect_call, 0
	.section	.AMDGPU.csdata,"",@progbits
; Kernel info:
; codeLenInByte = 320
; TotalNumSgprs: 9
; NumVgprs: 24
; ScratchSize: 0
; MemoryBound: 1
; FloatMode: 240
; IeeeMode: 1
; LDSByteSize: 4096 bytes/workgroup (compile time only)
; SGPRBlocks: 0
; VGPRBlocks: 1
; NumSGPRsForWavesPerEU: 9
; NumVGPRsForWavesPerEU: 24
; NamedBarCnt: 0
; Occupancy: 16
; WaveLimiterHint : 0
; COMPUTE_PGM_RSRC2:SCRATCH_EN: 0
; COMPUTE_PGM_RSRC2:USER_SGPR: 2
; COMPUTE_PGM_RSRC2:TRAP_HANDLER: 0
; COMPUTE_PGM_RSRC2:TGID_X_EN: 1
; COMPUTE_PGM_RSRC2:TGID_Y_EN: 0
; COMPUTE_PGM_RSRC2:TGID_Z_EN: 0
; COMPUTE_PGM_RSRC2:TIDIG_COMP_CNT: 0
	.section	.text._Z6kernelI2upN15benchmark_utils11custom_typeIddEELj256ELj8ELj100EEvPKT0_PS4_,"axG",@progbits,_Z6kernelI2upN15benchmark_utils11custom_typeIddEELj256ELj8ELj100EEvPKT0_PS4_,comdat
	.protected	_Z6kernelI2upN15benchmark_utils11custom_typeIddEELj256ELj8ELj100EEvPKT0_PS4_ ; -- Begin function _Z6kernelI2upN15benchmark_utils11custom_typeIddEELj256ELj8ELj100EEvPKT0_PS4_
	.globl	_Z6kernelI2upN15benchmark_utils11custom_typeIddEELj256ELj8ELj100EEvPKT0_PS4_
	.p2align	8
	.type	_Z6kernelI2upN15benchmark_utils11custom_typeIddEELj256ELj8ELj100EEvPKT0_PS4_,@function
_Z6kernelI2upN15benchmark_utils11custom_typeIddEELj256ELj8ELj100EEvPKT0_PS4_: ; @_Z6kernelI2upN15benchmark_utils11custom_typeIddEELj256ELj8ELj100EEvPKT0_PS4_
; %bb.0:
	s_load_b128 s[0:3], s[0:1], 0x0
	s_bfe_u32 s4, ttmp6, 0x4000c
	s_and_b32 s5, ttmp6, 15
	s_add_co_i32 s4, s4, 1
	s_getreg_b32 s6, hwreg(HW_REG_IB_STS2, 6, 4)
	s_mul_i32 s4, ttmp9, s4
	v_dual_lshlrev_b32 v1, 3, v0 :: v_dual_mov_b32 v39, 0
	s_add_co_i32 s5, s5, s4
	s_cmp_eq_u32 s6, 0
	v_cmp_ne_u32_e32 vcc_lo, 0, v0
	s_cselect_b32 s4, ttmp9, s5
	s_delay_alu instid0(SALU_CYCLE_1)
	v_lshl_or_b32 v38, s4, 11, v1
	v_lshlrev_b32_e32 v1, 4, v0
	s_wait_kmcnt 0x0
	s_clause 0x7
	global_load_b128 v[2:5], v38, s[0:1] offset:48 scale_offset
	global_load_b128 v[6:9], v38, s[0:1] offset:32 scale_offset
	;; [unrolled: 1-line block ×3, first 2 shown]
	global_load_b128 v[18:21], v38, s[0:1] scale_offset
	global_load_b128 v[30:33], v38, s[0:1] offset:112 scale_offset
	global_load_b128 v[14:17], v38, s[0:1] offset:96 scale_offset
	;; [unrolled: 1-line block ×4, first 2 shown]
	v_add_nc_u32_e32 v0, -16, v1
	s_wait_xcnt 0x0
	s_movk_i32 s0, 0x64
.LBB53_1:                               ; =>This Inner Loop Header: Depth=1
	s_wait_loadcnt 0x4
	s_delay_alu instid0(VALU_DEP_2) | instskip(NEXT) | instid1(VALU_DEP_2)
	v_mov_b64_e32 v[36:37], v[20:21]
	v_mov_b64_e32 v[34:35], v[18:19]
	s_wait_loadcnt 0x3
	ds_store_2addr_b64 v1, v[30:31], v[32:33] offset1:1
	s_wait_loadcnt_dscnt 0x0
	s_barrier_signal -1
	s_barrier_wait -1
	s_and_saveexec_b32 s1, vcc_lo
; %bb.2:                                ;   in Loop: Header=BB53_1 Depth=1
	ds_load_2addr_b64 v[34:37], v0 offset1:1
; %bb.3:                                ;   in Loop: Header=BB53_1 Depth=1
	s_or_b32 exec_lo, exec_lo, s1
	s_add_co_i32 s0, s0, -1
	s_wait_dscnt 0x0
	s_cmp_lg_u32 s0, 0
	s_barrier_signal -1
	s_barrier_wait -1
	s_cbranch_scc0 .LBB53_5
; %bb.4:                                ;   in Loop: Header=BB53_1 Depth=1
	v_mov_b64_e32 v[32:33], v[16:17]
	v_mov_b64_e32 v[30:31], v[14:15]
	;; [unrolled: 1-line block ×16, first 2 shown]
	s_branch .LBB53_1
.LBB53_5:
	v_lshl_add_u64 v[0:1], v[38:39], 4, s[2:3]
	s_clause 0x7
	global_store_b128 v[0:1], v[34:37], off
	global_store_b128 v[0:1], v[18:21], off offset:16
	global_store_b128 v[0:1], v[10:13], off offset:32
	;; [unrolled: 1-line block ×7, first 2 shown]
	s_endpgm
	.section	.rodata,"a",@progbits
	.p2align	6, 0x0
	.amdhsa_kernel _Z6kernelI2upN15benchmark_utils11custom_typeIddEELj256ELj8ELj100EEvPKT0_PS4_
		.amdhsa_group_segment_fixed_size 4096
		.amdhsa_private_segment_fixed_size 0
		.amdhsa_kernarg_size 16
		.amdhsa_user_sgpr_count 2
		.amdhsa_user_sgpr_dispatch_ptr 0
		.amdhsa_user_sgpr_queue_ptr 0
		.amdhsa_user_sgpr_kernarg_segment_ptr 1
		.amdhsa_user_sgpr_dispatch_id 0
		.amdhsa_user_sgpr_kernarg_preload_length 0
		.amdhsa_user_sgpr_kernarg_preload_offset 0
		.amdhsa_user_sgpr_private_segment_size 0
		.amdhsa_wavefront_size32 1
		.amdhsa_uses_dynamic_stack 0
		.amdhsa_enable_private_segment 0
		.amdhsa_system_sgpr_workgroup_id_x 1
		.amdhsa_system_sgpr_workgroup_id_y 0
		.amdhsa_system_sgpr_workgroup_id_z 0
		.amdhsa_system_sgpr_workgroup_info 0
		.amdhsa_system_vgpr_workitem_id 0
		.amdhsa_next_free_vgpr 40
		.amdhsa_next_free_sgpr 7
		.amdhsa_named_barrier_count 0
		.amdhsa_reserve_vcc 1
		.amdhsa_float_round_mode_32 0
		.amdhsa_float_round_mode_16_64 0
		.amdhsa_float_denorm_mode_32 3
		.amdhsa_float_denorm_mode_16_64 3
		.amdhsa_fp16_overflow 0
		.amdhsa_memory_ordered 1
		.amdhsa_forward_progress 1
		.amdhsa_inst_pref_size 4
		.amdhsa_round_robin_scheduling 0
		.amdhsa_exception_fp_ieee_invalid_op 0
		.amdhsa_exception_fp_denorm_src 0
		.amdhsa_exception_fp_ieee_div_zero 0
		.amdhsa_exception_fp_ieee_overflow 0
		.amdhsa_exception_fp_ieee_underflow 0
		.amdhsa_exception_fp_ieee_inexact 0
		.amdhsa_exception_int_div_zero 0
	.end_amdhsa_kernel
	.section	.text._Z6kernelI2upN15benchmark_utils11custom_typeIddEELj256ELj8ELj100EEvPKT0_PS4_,"axG",@progbits,_Z6kernelI2upN15benchmark_utils11custom_typeIddEELj256ELj8ELj100EEvPKT0_PS4_,comdat
.Lfunc_end53:
	.size	_Z6kernelI2upN15benchmark_utils11custom_typeIddEELj256ELj8ELj100EEvPKT0_PS4_, .Lfunc_end53-_Z6kernelI2upN15benchmark_utils11custom_typeIddEELj256ELj8ELj100EEvPKT0_PS4_
                                        ; -- End function
	.set _Z6kernelI2upN15benchmark_utils11custom_typeIddEELj256ELj8ELj100EEvPKT0_PS4_.num_vgpr, 40
	.set _Z6kernelI2upN15benchmark_utils11custom_typeIddEELj256ELj8ELj100EEvPKT0_PS4_.num_agpr, 0
	.set _Z6kernelI2upN15benchmark_utils11custom_typeIddEELj256ELj8ELj100EEvPKT0_PS4_.numbered_sgpr, 7
	.set _Z6kernelI2upN15benchmark_utils11custom_typeIddEELj256ELj8ELj100EEvPKT0_PS4_.num_named_barrier, 0
	.set _Z6kernelI2upN15benchmark_utils11custom_typeIddEELj256ELj8ELj100EEvPKT0_PS4_.private_seg_size, 0
	.set _Z6kernelI2upN15benchmark_utils11custom_typeIddEELj256ELj8ELj100EEvPKT0_PS4_.uses_vcc, 1
	.set _Z6kernelI2upN15benchmark_utils11custom_typeIddEELj256ELj8ELj100EEvPKT0_PS4_.uses_flat_scratch, 0
	.set _Z6kernelI2upN15benchmark_utils11custom_typeIddEELj256ELj8ELj100EEvPKT0_PS4_.has_dyn_sized_stack, 0
	.set _Z6kernelI2upN15benchmark_utils11custom_typeIddEELj256ELj8ELj100EEvPKT0_PS4_.has_recursion, 0
	.set _Z6kernelI2upN15benchmark_utils11custom_typeIddEELj256ELj8ELj100EEvPKT0_PS4_.has_indirect_call, 0
	.section	.AMDGPU.csdata,"",@progbits
; Kernel info:
; codeLenInByte = 452
; TotalNumSgprs: 9
; NumVgprs: 40
; ScratchSize: 0
; MemoryBound: 1
; FloatMode: 240
; IeeeMode: 1
; LDSByteSize: 4096 bytes/workgroup (compile time only)
; SGPRBlocks: 0
; VGPRBlocks: 2
; NumSGPRsForWavesPerEU: 9
; NumVGPRsForWavesPerEU: 40
; NamedBarCnt: 0
; Occupancy: 16
; WaveLimiterHint : 0
; COMPUTE_PGM_RSRC2:SCRATCH_EN: 0
; COMPUTE_PGM_RSRC2:USER_SGPR: 2
; COMPUTE_PGM_RSRC2:TRAP_HANDLER: 0
; COMPUTE_PGM_RSRC2:TGID_X_EN: 1
; COMPUTE_PGM_RSRC2:TGID_Y_EN: 0
; COMPUTE_PGM_RSRC2:TGID_Z_EN: 0
; COMPUTE_PGM_RSRC2:TIDIG_COMP_CNT: 0
	.section	.text._Z6kernelI2upN15benchmark_utils11custom_typeIddEELj256ELj16ELj100EEvPKT0_PS4_,"axG",@progbits,_Z6kernelI2upN15benchmark_utils11custom_typeIddEELj256ELj16ELj100EEvPKT0_PS4_,comdat
	.protected	_Z6kernelI2upN15benchmark_utils11custom_typeIddEELj256ELj16ELj100EEvPKT0_PS4_ ; -- Begin function _Z6kernelI2upN15benchmark_utils11custom_typeIddEELj256ELj16ELj100EEvPKT0_PS4_
	.globl	_Z6kernelI2upN15benchmark_utils11custom_typeIddEELj256ELj16ELj100EEvPKT0_PS4_
	.p2align	8
	.type	_Z6kernelI2upN15benchmark_utils11custom_typeIddEELj256ELj16ELj100EEvPKT0_PS4_,@function
_Z6kernelI2upN15benchmark_utils11custom_typeIddEELj256ELj16ELj100EEvPKT0_PS4_: ; @_Z6kernelI2upN15benchmark_utils11custom_typeIddEELj256ELj16ELj100EEvPKT0_PS4_
; %bb.0:
	s_load_b128 s[0:3], s[0:1], 0x0
	s_bfe_u32 s4, ttmp6, 0x4000c
	s_and_b32 s5, ttmp6, 15
	s_add_co_i32 s4, s4, 1
	s_getreg_b32 s6, hwreg(HW_REG_IB_STS2, 6, 4)
	s_mul_i32 s4, ttmp9, s4
	v_dual_lshlrev_b32 v1, 4, v0 :: v_dual_mov_b32 v71, 0
	s_add_co_i32 s5, s5, s4
	s_cmp_eq_u32 s6, 0
	v_cmp_ne_u32_e32 vcc_lo, 0, v0
	s_cselect_b32 s4, ttmp9, s5
	v_add_nc_u32_e32 v0, -16, v1
	v_lshl_or_b32 v70, s4, 12, v1
	s_wait_kmcnt 0x0
	s_clause 0xf
	global_load_b128 v[2:5], v70, s[0:1] offset:48 scale_offset
	global_load_b128 v[6:9], v70, s[0:1] offset:32 scale_offset
	;; [unrolled: 1-line block ×3, first 2 shown]
	global_load_b128 v[26:29], v70, s[0:1] scale_offset
	global_load_b128 v[10:13], v70, s[0:1] offset:112 scale_offset
	global_load_b128 v[18:21], v70, s[0:1] offset:96 scale_offset
	;; [unrolled: 1-line block ×12, first 2 shown]
	s_wait_xcnt 0x0
	s_movk_i32 s0, 0x64
.LBB54_1:                               ; =>This Inner Loop Header: Depth=1
	s_wait_loadcnt 0xc
	s_delay_alu instid0(VALU_DEP_2) | instskip(NEXT) | instid1(VALU_DEP_2)
	v_mov_b64_e32 v[68:69], v[28:29]
	v_mov_b64_e32 v[66:67], v[26:27]
	s_wait_loadcnt 0x3
	ds_store_2addr_b64 v1, v[62:63], v[64:65] offset1:1
	s_wait_loadcnt_dscnt 0x0
	s_barrier_signal -1
	s_barrier_wait -1
	s_and_saveexec_b32 s1, vcc_lo
; %bb.2:                                ;   in Loop: Header=BB54_1 Depth=1
	ds_load_2addr_b64 v[66:69], v0 offset1:1
; %bb.3:                                ;   in Loop: Header=BB54_1 Depth=1
	s_or_b32 exec_lo, exec_lo, s1
	s_add_co_i32 s0, s0, -1
	s_wait_dscnt 0x0
	s_cmp_lg_u32 s0, 0
	s_barrier_signal -1
	s_barrier_wait -1
	s_cbranch_scc0 .LBB54_5
; %bb.4:                                ;   in Loop: Header=BB54_1 Depth=1
	v_mov_b64_e32 v[64:65], v[52:53]
	v_mov_b64_e32 v[62:63], v[50:51]
	;; [unrolled: 1-line block ×32, first 2 shown]
	s_branch .LBB54_1
.LBB54_5:
	v_lshl_add_u64 v[0:1], v[70:71], 4, s[2:3]
	s_clause 0xf
	global_store_b128 v[0:1], v[66:69], off
	global_store_b128 v[0:1], v[26:29], off offset:16
	global_store_b128 v[0:1], v[14:17], off offset:32
	;; [unrolled: 1-line block ×15, first 2 shown]
	s_sendmsg sendmsg(MSG_DEALLOC_VGPRS)
	s_endpgm
	.section	.rodata,"a",@progbits
	.p2align	6, 0x0
	.amdhsa_kernel _Z6kernelI2upN15benchmark_utils11custom_typeIddEELj256ELj16ELj100EEvPKT0_PS4_
		.amdhsa_group_segment_fixed_size 4096
		.amdhsa_private_segment_fixed_size 0
		.amdhsa_kernarg_size 16
		.amdhsa_user_sgpr_count 2
		.amdhsa_user_sgpr_dispatch_ptr 0
		.amdhsa_user_sgpr_queue_ptr 0
		.amdhsa_user_sgpr_kernarg_segment_ptr 1
		.amdhsa_user_sgpr_dispatch_id 0
		.amdhsa_user_sgpr_kernarg_preload_length 0
		.amdhsa_user_sgpr_kernarg_preload_offset 0
		.amdhsa_user_sgpr_private_segment_size 0
		.amdhsa_wavefront_size32 1
		.amdhsa_uses_dynamic_stack 0
		.amdhsa_enable_private_segment 0
		.amdhsa_system_sgpr_workgroup_id_x 1
		.amdhsa_system_sgpr_workgroup_id_y 0
		.amdhsa_system_sgpr_workgroup_id_z 0
		.amdhsa_system_sgpr_workgroup_info 0
		.amdhsa_system_vgpr_workitem_id 0
		.amdhsa_next_free_vgpr 72
		.amdhsa_next_free_sgpr 7
		.amdhsa_named_barrier_count 0
		.amdhsa_reserve_vcc 1
		.amdhsa_float_round_mode_32 0
		.amdhsa_float_round_mode_16_64 0
		.amdhsa_float_denorm_mode_32 3
		.amdhsa_float_denorm_mode_16_64 3
		.amdhsa_fp16_overflow 0
		.amdhsa_memory_ordered 1
		.amdhsa_forward_progress 1
		.amdhsa_inst_pref_size 6
		.amdhsa_round_robin_scheduling 0
		.amdhsa_exception_fp_ieee_invalid_op 0
		.amdhsa_exception_fp_denorm_src 0
		.amdhsa_exception_fp_ieee_div_zero 0
		.amdhsa_exception_fp_ieee_overflow 0
		.amdhsa_exception_fp_ieee_underflow 0
		.amdhsa_exception_fp_ieee_inexact 0
		.amdhsa_exception_int_div_zero 0
	.end_amdhsa_kernel
	.section	.text._Z6kernelI2upN15benchmark_utils11custom_typeIddEELj256ELj16ELj100EEvPKT0_PS4_,"axG",@progbits,_Z6kernelI2upN15benchmark_utils11custom_typeIddEELj256ELj16ELj100EEvPKT0_PS4_,comdat
.Lfunc_end54:
	.size	_Z6kernelI2upN15benchmark_utils11custom_typeIddEELj256ELj16ELj100EEvPKT0_PS4_, .Lfunc_end54-_Z6kernelI2upN15benchmark_utils11custom_typeIddEELj256ELj16ELj100EEvPKT0_PS4_
                                        ; -- End function
	.set _Z6kernelI2upN15benchmark_utils11custom_typeIddEELj256ELj16ELj100EEvPKT0_PS4_.num_vgpr, 72
	.set _Z6kernelI2upN15benchmark_utils11custom_typeIddEELj256ELj16ELj100EEvPKT0_PS4_.num_agpr, 0
	.set _Z6kernelI2upN15benchmark_utils11custom_typeIddEELj256ELj16ELj100EEvPKT0_PS4_.numbered_sgpr, 7
	.set _Z6kernelI2upN15benchmark_utils11custom_typeIddEELj256ELj16ELj100EEvPKT0_PS4_.num_named_barrier, 0
	.set _Z6kernelI2upN15benchmark_utils11custom_typeIddEELj256ELj16ELj100EEvPKT0_PS4_.private_seg_size, 0
	.set _Z6kernelI2upN15benchmark_utils11custom_typeIddEELj256ELj16ELj100EEvPKT0_PS4_.uses_vcc, 1
	.set _Z6kernelI2upN15benchmark_utils11custom_typeIddEELj256ELj16ELj100EEvPKT0_PS4_.uses_flat_scratch, 0
	.set _Z6kernelI2upN15benchmark_utils11custom_typeIddEELj256ELj16ELj100EEvPKT0_PS4_.has_dyn_sized_stack, 0
	.set _Z6kernelI2upN15benchmark_utils11custom_typeIddEELj256ELj16ELj100EEvPKT0_PS4_.has_recursion, 0
	.set _Z6kernelI2upN15benchmark_utils11custom_typeIddEELj256ELj16ELj100EEvPKT0_PS4_.has_indirect_call, 0
	.section	.AMDGPU.csdata,"",@progbits
; Kernel info:
; codeLenInByte = 704
; TotalNumSgprs: 9
; NumVgprs: 72
; ScratchSize: 0
; MemoryBound: 1
; FloatMode: 240
; IeeeMode: 1
; LDSByteSize: 4096 bytes/workgroup (compile time only)
; SGPRBlocks: 0
; VGPRBlocks: 4
; NumSGPRsForWavesPerEU: 9
; NumVGPRsForWavesPerEU: 72
; NamedBarCnt: 0
; Occupancy: 12
; WaveLimiterHint : 0
; COMPUTE_PGM_RSRC2:SCRATCH_EN: 0
; COMPUTE_PGM_RSRC2:USER_SGPR: 2
; COMPUTE_PGM_RSRC2:TRAP_HANDLER: 0
; COMPUTE_PGM_RSRC2:TGID_X_EN: 1
; COMPUTE_PGM_RSRC2:TGID_Y_EN: 0
; COMPUTE_PGM_RSRC2:TGID_Z_EN: 0
; COMPUTE_PGM_RSRC2:TIDIG_COMP_CNT: 0
	.section	.text._Z6kernelI2upN15benchmark_utils11custom_typeIddEELj256ELj32ELj100EEvPKT0_PS4_,"axG",@progbits,_Z6kernelI2upN15benchmark_utils11custom_typeIddEELj256ELj32ELj100EEvPKT0_PS4_,comdat
	.protected	_Z6kernelI2upN15benchmark_utils11custom_typeIddEELj256ELj32ELj100EEvPKT0_PS4_ ; -- Begin function _Z6kernelI2upN15benchmark_utils11custom_typeIddEELj256ELj32ELj100EEvPKT0_PS4_
	.globl	_Z6kernelI2upN15benchmark_utils11custom_typeIddEELj256ELj32ELj100EEvPKT0_PS4_
	.p2align	8
	.type	_Z6kernelI2upN15benchmark_utils11custom_typeIddEELj256ELj32ELj100EEvPKT0_PS4_,@function
_Z6kernelI2upN15benchmark_utils11custom_typeIddEELj256ELj32ELj100EEvPKT0_PS4_: ; @_Z6kernelI2upN15benchmark_utils11custom_typeIddEELj256ELj32ELj100EEvPKT0_PS4_
; %bb.0:
	s_load_b128 s[0:3], s[0:1], 0x0
	s_bfe_u32 s4, ttmp6, 0x4000c
	s_and_b32 s5, ttmp6, 15
	s_add_co_i32 s4, s4, 1
	s_getreg_b32 s6, hwreg(HW_REG_IB_STS2, 6, 4)
	s_mul_i32 s4, ttmp9, s4
	v_dual_lshlrev_b32 v1, 5, v0 :: v_dual_mov_b32 v135, 0
	s_add_co_i32 s5, s5, s4
	s_cmp_eq_u32 s6, 0
	v_cmp_ne_u32_e32 vcc_lo, 0, v0
	s_cselect_b32 s4, ttmp9, s5
	s_delay_alu instid0(SALU_CYCLE_1)
	v_lshl_or_b32 v134, s4, 13, v1
	v_lshlrev_b32_e32 v1, 4, v0
	s_wait_kmcnt 0x0
	s_clause 0x1f
	global_load_b128 v[2:5], v134, s[0:1] offset:48 scale_offset
	global_load_b128 v[6:9], v134, s[0:1] offset:32 scale_offset
	global_load_b128 v[14:17], v134, s[0:1] offset:16 scale_offset
	global_load_b128 v[26:29], v134, s[0:1] scale_offset
	global_load_b128 v[10:13], v134, s[0:1] offset:112 scale_offset
	global_load_b128 v[18:21], v134, s[0:1] offset:96 scale_offset
	;; [unrolled: 1-line block ×28, first 2 shown]
	v_add_nc_u32_e32 v0, -16, v1
	s_wait_xcnt 0x0
	s_movk_i32 s0, 0x64
.LBB55_1:                               ; =>This Inner Loop Header: Depth=1
	s_wait_loadcnt 0x1c
	s_delay_alu instid0(VALU_DEP_2) | instskip(NEXT) | instid1(VALU_DEP_2)
	v_mov_b64_e32 v[132:133], v[28:29]
	v_mov_b64_e32 v[130:131], v[26:27]
	s_wait_loadcnt 0x3
	ds_store_2addr_b64 v1, v[126:127], v[128:129] offset1:1
	s_wait_loadcnt_dscnt 0x0
	s_barrier_signal -1
	s_barrier_wait -1
	s_and_saveexec_b32 s1, vcc_lo
; %bb.2:                                ;   in Loop: Header=BB55_1 Depth=1
	ds_load_2addr_b64 v[130:133], v0 offset1:1
; %bb.3:                                ;   in Loop: Header=BB55_1 Depth=1
	s_or_b32 exec_lo, exec_lo, s1
	s_add_co_i32 s0, s0, -1
	s_wait_dscnt 0x0
	s_cmp_lg_u32 s0, 0
	s_barrier_signal -1
	s_barrier_wait -1
	s_cbranch_scc0 .LBB55_5
; %bb.4:                                ;   in Loop: Header=BB55_1 Depth=1
	v_mov_b64_e32 v[128:129], v[44:45]
	v_mov_b64_e32 v[126:127], v[42:43]
	;; [unrolled: 1-line block ×64, first 2 shown]
	s_branch .LBB55_1
.LBB55_5:
	v_lshl_add_u64 v[0:1], v[134:135], 4, s[2:3]
	s_clause 0x1f
	global_store_b128 v[0:1], v[130:133], off
	global_store_b128 v[0:1], v[26:29], off offset:16
	global_store_b128 v[0:1], v[14:17], off offset:32
	;; [unrolled: 1-line block ×31, first 2 shown]
	s_sendmsg sendmsg(MSG_DEALLOC_VGPRS)
	s_endpgm
	.section	.rodata,"a",@progbits
	.p2align	6, 0x0
	.amdhsa_kernel _Z6kernelI2upN15benchmark_utils11custom_typeIddEELj256ELj32ELj100EEvPKT0_PS4_
		.amdhsa_group_segment_fixed_size 4096
		.amdhsa_private_segment_fixed_size 0
		.amdhsa_kernarg_size 16
		.amdhsa_user_sgpr_count 2
		.amdhsa_user_sgpr_dispatch_ptr 0
		.amdhsa_user_sgpr_queue_ptr 0
		.amdhsa_user_sgpr_kernarg_segment_ptr 1
		.amdhsa_user_sgpr_dispatch_id 0
		.amdhsa_user_sgpr_kernarg_preload_length 0
		.amdhsa_user_sgpr_kernarg_preload_offset 0
		.amdhsa_user_sgpr_private_segment_size 0
		.amdhsa_wavefront_size32 1
		.amdhsa_uses_dynamic_stack 0
		.amdhsa_enable_private_segment 0
		.amdhsa_system_sgpr_workgroup_id_x 1
		.amdhsa_system_sgpr_workgroup_id_y 0
		.amdhsa_system_sgpr_workgroup_id_z 0
		.amdhsa_system_sgpr_workgroup_info 0
		.amdhsa_system_vgpr_workitem_id 0
		.amdhsa_next_free_vgpr 136
		.amdhsa_next_free_sgpr 7
		.amdhsa_named_barrier_count 0
		.amdhsa_reserve_vcc 1
		.amdhsa_float_round_mode_32 0
		.amdhsa_float_round_mode_16_64 0
		.amdhsa_float_denorm_mode_32 3
		.amdhsa_float_denorm_mode_16_64 3
		.amdhsa_fp16_overflow 0
		.amdhsa_memory_ordered 1
		.amdhsa_forward_progress 1
		.amdhsa_inst_pref_size 10
		.amdhsa_round_robin_scheduling 0
		.amdhsa_exception_fp_ieee_invalid_op 0
		.amdhsa_exception_fp_denorm_src 0
		.amdhsa_exception_fp_ieee_div_zero 0
		.amdhsa_exception_fp_ieee_overflow 0
		.amdhsa_exception_fp_ieee_underflow 0
		.amdhsa_exception_fp_ieee_inexact 0
		.amdhsa_exception_int_div_zero 0
	.end_amdhsa_kernel
	.section	.text._Z6kernelI2upN15benchmark_utils11custom_typeIddEELj256ELj32ELj100EEvPKT0_PS4_,"axG",@progbits,_Z6kernelI2upN15benchmark_utils11custom_typeIddEELj256ELj32ELj100EEvPKT0_PS4_,comdat
.Lfunc_end55:
	.size	_Z6kernelI2upN15benchmark_utils11custom_typeIddEELj256ELj32ELj100EEvPKT0_PS4_, .Lfunc_end55-_Z6kernelI2upN15benchmark_utils11custom_typeIddEELj256ELj32ELj100EEvPKT0_PS4_
                                        ; -- End function
	.set _Z6kernelI2upN15benchmark_utils11custom_typeIddEELj256ELj32ELj100EEvPKT0_PS4_.num_vgpr, 136
	.set _Z6kernelI2upN15benchmark_utils11custom_typeIddEELj256ELj32ELj100EEvPKT0_PS4_.num_agpr, 0
	.set _Z6kernelI2upN15benchmark_utils11custom_typeIddEELj256ELj32ELj100EEvPKT0_PS4_.numbered_sgpr, 7
	.set _Z6kernelI2upN15benchmark_utils11custom_typeIddEELj256ELj32ELj100EEvPKT0_PS4_.num_named_barrier, 0
	.set _Z6kernelI2upN15benchmark_utils11custom_typeIddEELj256ELj32ELj100EEvPKT0_PS4_.private_seg_size, 0
	.set _Z6kernelI2upN15benchmark_utils11custom_typeIddEELj256ELj32ELj100EEvPKT0_PS4_.uses_vcc, 1
	.set _Z6kernelI2upN15benchmark_utils11custom_typeIddEELj256ELj32ELj100EEvPKT0_PS4_.uses_flat_scratch, 0
	.set _Z6kernelI2upN15benchmark_utils11custom_typeIddEELj256ELj32ELj100EEvPKT0_PS4_.has_dyn_sized_stack, 0
	.set _Z6kernelI2upN15benchmark_utils11custom_typeIddEELj256ELj32ELj100EEvPKT0_PS4_.has_recursion, 0
	.set _Z6kernelI2upN15benchmark_utils11custom_typeIddEELj256ELj32ELj100EEvPKT0_PS4_.has_indirect_call, 0
	.section	.AMDGPU.csdata,"",@progbits
; Kernel info:
; codeLenInByte = 1224
; TotalNumSgprs: 9
; NumVgprs: 136
; ScratchSize: 0
; MemoryBound: 1
; FloatMode: 240
; IeeeMode: 1
; LDSByteSize: 4096 bytes/workgroup (compile time only)
; SGPRBlocks: 0
; VGPRBlocks: 8
; NumSGPRsForWavesPerEU: 9
; NumVGPRsForWavesPerEU: 136
; NamedBarCnt: 0
; Occupancy: 7
; WaveLimiterHint : 0
; COMPUTE_PGM_RSRC2:SCRATCH_EN: 0
; COMPUTE_PGM_RSRC2:USER_SGPR: 2
; COMPUTE_PGM_RSRC2:TRAP_HANDLER: 0
; COMPUTE_PGM_RSRC2:TGID_X_EN: 1
; COMPUTE_PGM_RSRC2:TGID_Y_EN: 0
; COMPUTE_PGM_RSRC2:TGID_Z_EN: 0
; COMPUTE_PGM_RSRC2:TIDIG_COMP_CNT: 0
	.section	.text._Z6kernelI4downiLj256ELj1ELj100EEvPKT0_PS1_,"axG",@progbits,_Z6kernelI4downiLj256ELj1ELj100EEvPKT0_PS1_,comdat
	.protected	_Z6kernelI4downiLj256ELj1ELj100EEvPKT0_PS1_ ; -- Begin function _Z6kernelI4downiLj256ELj1ELj100EEvPKT0_PS1_
	.globl	_Z6kernelI4downiLj256ELj1ELj100EEvPKT0_PS1_
	.p2align	8
	.type	_Z6kernelI4downiLj256ELj1ELj100EEvPKT0_PS1_,@function
_Z6kernelI4downiLj256ELj1ELj100EEvPKT0_PS1_: ; @_Z6kernelI4downiLj256ELj1ELj100EEvPKT0_PS1_
; %bb.0:
	s_load_b128 s[0:3], s[0:1], 0x0
	s_bfe_u32 s4, ttmp6, 0x4000c
	s_and_b32 s5, ttmp6, 15
	s_add_co_i32 s4, s4, 1
	s_getreg_b32 s6, hwreg(HW_REG_IB_STS2, 6, 4)
	s_mul_i32 s4, ttmp9, s4
	v_dual_mov_b32 v3, 0 :: v_dual_lshlrev_b32 v4, 2, v0
	s_add_co_i32 s5, s5, s4
	s_cmp_eq_u32 s6, 0
	v_cmp_gt_u32_e32 vcc_lo, 0xff, v0
	s_cselect_b32 s4, ttmp9, s5
	s_delay_alu instid0(SALU_CYCLE_1)
	v_lshl_or_b32 v2, s4, 8, v0
	s_wait_kmcnt 0x0
	global_load_b32 v1, v2, s[0:1] scale_offset
	s_wait_xcnt 0x0
	s_movk_i32 s0, 0x64
	s_branch .LBB56_2
.LBB56_1:                               ;   in Loop: Header=BB56_2 Depth=1
	s_or_b32 exec_lo, exec_lo, s1
	s_add_co_i32 s0, s0, -1
	s_wait_dscnt 0x0
	s_cmp_lg_u32 s0, 0
	s_barrier_signal -1
	s_barrier_wait -1
	s_cbranch_scc0 .LBB56_4
.LBB56_2:                               ; =>This Inner Loop Header: Depth=1
	s_wait_loadcnt 0x0
	ds_store_b32 v4, v1
	s_wait_dscnt 0x0
	s_barrier_signal -1
	s_barrier_wait -1
	s_and_saveexec_b32 s1, vcc_lo
	s_cbranch_execz .LBB56_1
; %bb.3:                                ;   in Loop: Header=BB56_2 Depth=1
	ds_load_b32 v1, v4 offset:4
	s_branch .LBB56_1
.LBB56_4:
	v_lshl_add_u64 v[2:3], v[2:3], 2, s[2:3]
	global_store_b32 v[2:3], v1, off
	s_endpgm
	.section	.rodata,"a",@progbits
	.p2align	6, 0x0
	.amdhsa_kernel _Z6kernelI4downiLj256ELj1ELj100EEvPKT0_PS1_
		.amdhsa_group_segment_fixed_size 1024
		.amdhsa_private_segment_fixed_size 0
		.amdhsa_kernarg_size 16
		.amdhsa_user_sgpr_count 2
		.amdhsa_user_sgpr_dispatch_ptr 0
		.amdhsa_user_sgpr_queue_ptr 0
		.amdhsa_user_sgpr_kernarg_segment_ptr 1
		.amdhsa_user_sgpr_dispatch_id 0
		.amdhsa_user_sgpr_kernarg_preload_length 0
		.amdhsa_user_sgpr_kernarg_preload_offset 0
		.amdhsa_user_sgpr_private_segment_size 0
		.amdhsa_wavefront_size32 1
		.amdhsa_uses_dynamic_stack 0
		.amdhsa_enable_private_segment 0
		.amdhsa_system_sgpr_workgroup_id_x 1
		.amdhsa_system_sgpr_workgroup_id_y 0
		.amdhsa_system_sgpr_workgroup_id_z 0
		.amdhsa_system_sgpr_workgroup_info 0
		.amdhsa_system_vgpr_workitem_id 0
		.amdhsa_next_free_vgpr 5
		.amdhsa_next_free_sgpr 7
		.amdhsa_named_barrier_count 0
		.amdhsa_reserve_vcc 1
		.amdhsa_float_round_mode_32 0
		.amdhsa_float_round_mode_16_64 0
		.amdhsa_float_denorm_mode_32 3
		.amdhsa_float_denorm_mode_16_64 3
		.amdhsa_fp16_overflow 0
		.amdhsa_memory_ordered 1
		.amdhsa_forward_progress 1
		.amdhsa_inst_pref_size 2
		.amdhsa_round_robin_scheduling 0
		.amdhsa_exception_fp_ieee_invalid_op 0
		.amdhsa_exception_fp_denorm_src 0
		.amdhsa_exception_fp_ieee_div_zero 0
		.amdhsa_exception_fp_ieee_overflow 0
		.amdhsa_exception_fp_ieee_underflow 0
		.amdhsa_exception_fp_ieee_inexact 0
		.amdhsa_exception_int_div_zero 0
	.end_amdhsa_kernel
	.section	.text._Z6kernelI4downiLj256ELj1ELj100EEvPKT0_PS1_,"axG",@progbits,_Z6kernelI4downiLj256ELj1ELj100EEvPKT0_PS1_,comdat
.Lfunc_end56:
	.size	_Z6kernelI4downiLj256ELj1ELj100EEvPKT0_PS1_, .Lfunc_end56-_Z6kernelI4downiLj256ELj1ELj100EEvPKT0_PS1_
                                        ; -- End function
	.set _Z6kernelI4downiLj256ELj1ELj100EEvPKT0_PS1_.num_vgpr, 5
	.set _Z6kernelI4downiLj256ELj1ELj100EEvPKT0_PS1_.num_agpr, 0
	.set _Z6kernelI4downiLj256ELj1ELj100EEvPKT0_PS1_.numbered_sgpr, 7
	.set _Z6kernelI4downiLj256ELj1ELj100EEvPKT0_PS1_.num_named_barrier, 0
	.set _Z6kernelI4downiLj256ELj1ELj100EEvPKT0_PS1_.private_seg_size, 0
	.set _Z6kernelI4downiLj256ELj1ELj100EEvPKT0_PS1_.uses_vcc, 1
	.set _Z6kernelI4downiLj256ELj1ELj100EEvPKT0_PS1_.uses_flat_scratch, 0
	.set _Z6kernelI4downiLj256ELj1ELj100EEvPKT0_PS1_.has_dyn_sized_stack, 0
	.set _Z6kernelI4downiLj256ELj1ELj100EEvPKT0_PS1_.has_recursion, 0
	.set _Z6kernelI4downiLj256ELj1ELj100EEvPKT0_PS1_.has_indirect_call, 0
	.section	.AMDGPU.csdata,"",@progbits
; Kernel info:
; codeLenInByte = 196
; TotalNumSgprs: 9
; NumVgprs: 5
; ScratchSize: 0
; MemoryBound: 0
; FloatMode: 240
; IeeeMode: 1
; LDSByteSize: 1024 bytes/workgroup (compile time only)
; SGPRBlocks: 0
; VGPRBlocks: 0
; NumSGPRsForWavesPerEU: 9
; NumVGPRsForWavesPerEU: 5
; NamedBarCnt: 0
; Occupancy: 16
; WaveLimiterHint : 0
; COMPUTE_PGM_RSRC2:SCRATCH_EN: 0
; COMPUTE_PGM_RSRC2:USER_SGPR: 2
; COMPUTE_PGM_RSRC2:TRAP_HANDLER: 0
; COMPUTE_PGM_RSRC2:TGID_X_EN: 1
; COMPUTE_PGM_RSRC2:TGID_Y_EN: 0
; COMPUTE_PGM_RSRC2:TGID_Z_EN: 0
; COMPUTE_PGM_RSRC2:TIDIG_COMP_CNT: 0
	.section	.text._Z6kernelI4downiLj256ELj3ELj100EEvPKT0_PS1_,"axG",@progbits,_Z6kernelI4downiLj256ELj3ELj100EEvPKT0_PS1_,comdat
	.protected	_Z6kernelI4downiLj256ELj3ELj100EEvPKT0_PS1_ ; -- Begin function _Z6kernelI4downiLj256ELj3ELj100EEvPKT0_PS1_
	.globl	_Z6kernelI4downiLj256ELj3ELj100EEvPKT0_PS1_
	.p2align	8
	.type	_Z6kernelI4downiLj256ELj3ELj100EEvPKT0_PS1_,@function
_Z6kernelI4downiLj256ELj3ELj100EEvPKT0_PS1_: ; @_Z6kernelI4downiLj256ELj3ELj100EEvPKT0_PS1_
; %bb.0:
	s_bfe_u32 s4, ttmp6, 0x4000c
	s_and_b32 s5, ttmp6, 15
	s_add_co_i32 s4, s4, 1
	s_getreg_b32 s6, hwreg(HW_REG_IB_STS2, 6, 4)
	s_mul_i32 s4, ttmp9, s4
	s_load_b128 s[0:3], s[0:1], 0x0
	s_add_co_i32 s5, s5, s4
	s_cmp_eq_u32 s6, 0
	v_dual_mov_b32 v3, 0 :: v_dual_lshlrev_b32 v9, 2, v0
	s_cselect_b32 s4, ttmp9, s5
	v_cmp_gt_u32_e32 vcc_lo, 0xff, v0
	v_lshl_or_b32 v1, s4, 8, v0
	s_delay_alu instid0(VALU_DEP_3) | instskip(NEXT) | instid1(VALU_DEP_2)
	v_dual_mov_b32 v7, v3 :: v_dual_mov_b32 v5, v3
	v_lshl_add_u32 v2, v1, 1, v1
	s_delay_alu instid0(VALU_DEP_1)
	v_dual_add_nc_u32 v4, 2, v2 :: v_dual_add_nc_u32 v6, 1, v2
	s_wait_kmcnt 0x0
	s_clause 0x2
	global_load_b32 v1, v4, s[0:1] scale_offset
	global_load_b32 v10, v2, s[0:1] scale_offset
	;; [unrolled: 1-line block ×3, first 2 shown]
	s_wait_xcnt 0x0
	s_movk_i32 s0, 0x64
	s_wait_loadcnt 0x2
	v_mov_b32_e32 v0, v1
.LBB57_1:                               ; =>This Inner Loop Header: Depth=1
	s_wait_loadcnt 0x1
	ds_store_b32 v9, v10
	s_wait_loadcnt_dscnt 0x0
	s_barrier_signal -1
	s_barrier_wait -1
	s_and_saveexec_b32 s1, vcc_lo
; %bb.2:                                ;   in Loop: Header=BB57_1 Depth=1
	ds_load_b32 v0, v9 offset:4
; %bb.3:                                ;   in Loop: Header=BB57_1 Depth=1
	s_or_b32 exec_lo, exec_lo, s1
	s_add_co_i32 s0, s0, -1
	s_wait_dscnt 0x0
	s_cmp_lg_u32 s0, 0
	s_barrier_signal -1
	s_barrier_wait -1
	s_cbranch_scc0 .LBB57_5
; %bb.4:                                ;   in Loop: Header=BB57_1 Depth=1
	v_dual_mov_b32 v10, v8 :: v_dual_mov_b32 v8, v1
	v_mov_b32_e32 v1, v0
	s_branch .LBB57_1
.LBB57_5:
	v_lshl_add_u64 v[2:3], v[2:3], 2, s[2:3]
	v_lshl_add_u64 v[6:7], v[6:7], 2, s[2:3]
	v_lshl_add_u64 v[4:5], v[4:5], 2, s[2:3]
	s_clause 0x2
	global_store_b32 v[2:3], v8, off
	global_store_b32 v[6:7], v1, off
	;; [unrolled: 1-line block ×3, first 2 shown]
	s_endpgm
	.section	.rodata,"a",@progbits
	.p2align	6, 0x0
	.amdhsa_kernel _Z6kernelI4downiLj256ELj3ELj100EEvPKT0_PS1_
		.amdhsa_group_segment_fixed_size 1024
		.amdhsa_private_segment_fixed_size 0
		.amdhsa_kernarg_size 16
		.amdhsa_user_sgpr_count 2
		.amdhsa_user_sgpr_dispatch_ptr 0
		.amdhsa_user_sgpr_queue_ptr 0
		.amdhsa_user_sgpr_kernarg_segment_ptr 1
		.amdhsa_user_sgpr_dispatch_id 0
		.amdhsa_user_sgpr_kernarg_preload_length 0
		.amdhsa_user_sgpr_kernarg_preload_offset 0
		.amdhsa_user_sgpr_private_segment_size 0
		.amdhsa_wavefront_size32 1
		.amdhsa_uses_dynamic_stack 0
		.amdhsa_enable_private_segment 0
		.amdhsa_system_sgpr_workgroup_id_x 1
		.amdhsa_system_sgpr_workgroup_id_y 0
		.amdhsa_system_sgpr_workgroup_id_z 0
		.amdhsa_system_sgpr_workgroup_info 0
		.amdhsa_system_vgpr_workitem_id 0
		.amdhsa_next_free_vgpr 11
		.amdhsa_next_free_sgpr 7
		.amdhsa_named_barrier_count 0
		.amdhsa_reserve_vcc 1
		.amdhsa_float_round_mode_32 0
		.amdhsa_float_round_mode_16_64 0
		.amdhsa_float_denorm_mode_32 3
		.amdhsa_float_denorm_mode_16_64 3
		.amdhsa_fp16_overflow 0
		.amdhsa_memory_ordered 1
		.amdhsa_forward_progress 1
		.amdhsa_inst_pref_size 3
		.amdhsa_round_robin_scheduling 0
		.amdhsa_exception_fp_ieee_invalid_op 0
		.amdhsa_exception_fp_denorm_src 0
		.amdhsa_exception_fp_ieee_div_zero 0
		.amdhsa_exception_fp_ieee_overflow 0
		.amdhsa_exception_fp_ieee_underflow 0
		.amdhsa_exception_fp_ieee_inexact 0
		.amdhsa_exception_int_div_zero 0
	.end_amdhsa_kernel
	.section	.text._Z6kernelI4downiLj256ELj3ELj100EEvPKT0_PS1_,"axG",@progbits,_Z6kernelI4downiLj256ELj3ELj100EEvPKT0_PS1_,comdat
.Lfunc_end57:
	.size	_Z6kernelI4downiLj256ELj3ELj100EEvPKT0_PS1_, .Lfunc_end57-_Z6kernelI4downiLj256ELj3ELj100EEvPKT0_PS1_
                                        ; -- End function
	.set _Z6kernelI4downiLj256ELj3ELj100EEvPKT0_PS1_.num_vgpr, 11
	.set _Z6kernelI4downiLj256ELj3ELj100EEvPKT0_PS1_.num_agpr, 0
	.set _Z6kernelI4downiLj256ELj3ELj100EEvPKT0_PS1_.numbered_sgpr, 7
	.set _Z6kernelI4downiLj256ELj3ELj100EEvPKT0_PS1_.num_named_barrier, 0
	.set _Z6kernelI4downiLj256ELj3ELj100EEvPKT0_PS1_.private_seg_size, 0
	.set _Z6kernelI4downiLj256ELj3ELj100EEvPKT0_PS1_.uses_vcc, 1
	.set _Z6kernelI4downiLj256ELj3ELj100EEvPKT0_PS1_.uses_flat_scratch, 0
	.set _Z6kernelI4downiLj256ELj3ELj100EEvPKT0_PS1_.has_dyn_sized_stack, 0
	.set _Z6kernelI4downiLj256ELj3ELj100EEvPKT0_PS1_.has_recursion, 0
	.set _Z6kernelI4downiLj256ELj3ELj100EEvPKT0_PS1_.has_indirect_call, 0
	.section	.AMDGPU.csdata,"",@progbits
; Kernel info:
; codeLenInByte = 324
; TotalNumSgprs: 9
; NumVgprs: 11
; ScratchSize: 0
; MemoryBound: 0
; FloatMode: 240
; IeeeMode: 1
; LDSByteSize: 1024 bytes/workgroup (compile time only)
; SGPRBlocks: 0
; VGPRBlocks: 0
; NumSGPRsForWavesPerEU: 9
; NumVGPRsForWavesPerEU: 11
; NamedBarCnt: 0
; Occupancy: 16
; WaveLimiterHint : 0
; COMPUTE_PGM_RSRC2:SCRATCH_EN: 0
; COMPUTE_PGM_RSRC2:USER_SGPR: 2
; COMPUTE_PGM_RSRC2:TRAP_HANDLER: 0
; COMPUTE_PGM_RSRC2:TGID_X_EN: 1
; COMPUTE_PGM_RSRC2:TGID_Y_EN: 0
; COMPUTE_PGM_RSRC2:TGID_Z_EN: 0
; COMPUTE_PGM_RSRC2:TIDIG_COMP_CNT: 0
	.section	.text._Z6kernelI4downiLj256ELj4ELj100EEvPKT0_PS1_,"axG",@progbits,_Z6kernelI4downiLj256ELj4ELj100EEvPKT0_PS1_,comdat
	.protected	_Z6kernelI4downiLj256ELj4ELj100EEvPKT0_PS1_ ; -- Begin function _Z6kernelI4downiLj256ELj4ELj100EEvPKT0_PS1_
	.globl	_Z6kernelI4downiLj256ELj4ELj100EEvPKT0_PS1_
	.p2align	8
	.type	_Z6kernelI4downiLj256ELj4ELj100EEvPKT0_PS1_,@function
_Z6kernelI4downiLj256ELj4ELj100EEvPKT0_PS1_: ; @_Z6kernelI4downiLj256ELj4ELj100EEvPKT0_PS1_
; %bb.0:
	s_load_b128 s[0:3], s[0:1], 0x0
	s_bfe_u32 s4, ttmp6, 0x4000c
	s_and_b32 s5, ttmp6, 15
	s_add_co_i32 s4, s4, 1
	s_getreg_b32 s6, hwreg(HW_REG_IB_STS2, 6, 4)
	s_mul_i32 s4, ttmp9, s4
	v_dual_lshlrev_b32 v1, 2, v0 :: v_dual_mov_b32 v11, 0
	s_add_co_i32 s5, s5, s4
	s_cmp_eq_u32 s6, 0
	v_cmp_gt_u32_e32 vcc_lo, 0xff, v0
	s_cselect_b32 s4, ttmp9, s5
	s_delay_alu instid0(SALU_CYCLE_1) | instskip(SKIP_1) | instid1(VALU_DEP_1)
	v_lshl_or_b32 v10, s4, 10, v1
	s_wait_kmcnt 0x0
	v_lshl_add_u64 v[2:3], v[10:11], 2, s[0:1]
	s_movk_i32 s0, 0x64
	global_load_b128 v[2:5], v[2:3], off
.LBB58_1:                               ; =>This Inner Loop Header: Depth=1
	s_wait_loadcnt 0x0
	s_delay_alu instid0(VALU_DEP_1)
	v_mov_b32_e32 v9, v5
	ds_store_b32 v1, v2
	s_wait_dscnt 0x0
	s_barrier_signal -1
	s_barrier_wait -1
	s_and_saveexec_b32 s1, vcc_lo
; %bb.2:                                ;   in Loop: Header=BB58_1 Depth=1
	ds_load_b32 v9, v1 offset:4
; %bb.3:                                ;   in Loop: Header=BB58_1 Depth=1
	s_or_b32 exec_lo, exec_lo, s1
	s_add_co_i32 s0, s0, -1
	s_wait_dscnt 0x0
	s_cmp_lg_u32 s0, 0
	s_barrier_signal -1
	s_barrier_wait -1
	s_cbranch_scc0 .LBB58_5
; %bb.4:                                ;   in Loop: Header=BB58_1 Depth=1
	v_dual_mov_b32 v2, v3 :: v_dual_mov_b32 v3, v4
	v_dual_mov_b32 v4, v5 :: v_dual_mov_b32 v5, v9
	s_branch .LBB58_1
.LBB58_5:
	v_dual_mov_b32 v6, v3 :: v_dual_mov_b32 v7, v4
	v_mov_b32_e32 v8, v5
	v_lshl_add_u64 v[0:1], v[10:11], 2, s[2:3]
	global_store_b128 v[0:1], v[6:9], off
	s_endpgm
	.section	.rodata,"a",@progbits
	.p2align	6, 0x0
	.amdhsa_kernel _Z6kernelI4downiLj256ELj4ELj100EEvPKT0_PS1_
		.amdhsa_group_segment_fixed_size 1024
		.amdhsa_private_segment_fixed_size 0
		.amdhsa_kernarg_size 16
		.amdhsa_user_sgpr_count 2
		.amdhsa_user_sgpr_dispatch_ptr 0
		.amdhsa_user_sgpr_queue_ptr 0
		.amdhsa_user_sgpr_kernarg_segment_ptr 1
		.amdhsa_user_sgpr_dispatch_id 0
		.amdhsa_user_sgpr_kernarg_preload_length 0
		.amdhsa_user_sgpr_kernarg_preload_offset 0
		.amdhsa_user_sgpr_private_segment_size 0
		.amdhsa_wavefront_size32 1
		.amdhsa_uses_dynamic_stack 0
		.amdhsa_enable_private_segment 0
		.amdhsa_system_sgpr_workgroup_id_x 1
		.amdhsa_system_sgpr_workgroup_id_y 0
		.amdhsa_system_sgpr_workgroup_id_z 0
		.amdhsa_system_sgpr_workgroup_info 0
		.amdhsa_system_vgpr_workitem_id 0
		.amdhsa_next_free_vgpr 12
		.amdhsa_next_free_sgpr 7
		.amdhsa_named_barrier_count 0
		.amdhsa_reserve_vcc 1
		.amdhsa_float_round_mode_32 0
		.amdhsa_float_round_mode_16_64 0
		.amdhsa_float_denorm_mode_32 3
		.amdhsa_float_denorm_mode_16_64 3
		.amdhsa_fp16_overflow 0
		.amdhsa_memory_ordered 1
		.amdhsa_forward_progress 1
		.amdhsa_inst_pref_size 2
		.amdhsa_round_robin_scheduling 0
		.amdhsa_exception_fp_ieee_invalid_op 0
		.amdhsa_exception_fp_denorm_src 0
		.amdhsa_exception_fp_ieee_div_zero 0
		.amdhsa_exception_fp_ieee_overflow 0
		.amdhsa_exception_fp_ieee_underflow 0
		.amdhsa_exception_fp_ieee_inexact 0
		.amdhsa_exception_int_div_zero 0
	.end_amdhsa_kernel
	.section	.text._Z6kernelI4downiLj256ELj4ELj100EEvPKT0_PS1_,"axG",@progbits,_Z6kernelI4downiLj256ELj4ELj100EEvPKT0_PS1_,comdat
.Lfunc_end58:
	.size	_Z6kernelI4downiLj256ELj4ELj100EEvPKT0_PS1_, .Lfunc_end58-_Z6kernelI4downiLj256ELj4ELj100EEvPKT0_PS1_
                                        ; -- End function
	.set _Z6kernelI4downiLj256ELj4ELj100EEvPKT0_PS1_.num_vgpr, 12
	.set _Z6kernelI4downiLj256ELj4ELj100EEvPKT0_PS1_.num_agpr, 0
	.set _Z6kernelI4downiLj256ELj4ELj100EEvPKT0_PS1_.numbered_sgpr, 7
	.set _Z6kernelI4downiLj256ELj4ELj100EEvPKT0_PS1_.num_named_barrier, 0
	.set _Z6kernelI4downiLj256ELj4ELj100EEvPKT0_PS1_.private_seg_size, 0
	.set _Z6kernelI4downiLj256ELj4ELj100EEvPKT0_PS1_.uses_vcc, 1
	.set _Z6kernelI4downiLj256ELj4ELj100EEvPKT0_PS1_.uses_flat_scratch, 0
	.set _Z6kernelI4downiLj256ELj4ELj100EEvPKT0_PS1_.has_dyn_sized_stack, 0
	.set _Z6kernelI4downiLj256ELj4ELj100EEvPKT0_PS1_.has_recursion, 0
	.set _Z6kernelI4downiLj256ELj4ELj100EEvPKT0_PS1_.has_indirect_call, 0
	.section	.AMDGPU.csdata,"",@progbits
; Kernel info:
; codeLenInByte = 232
; TotalNumSgprs: 9
; NumVgprs: 12
; ScratchSize: 0
; MemoryBound: 0
; FloatMode: 240
; IeeeMode: 1
; LDSByteSize: 1024 bytes/workgroup (compile time only)
; SGPRBlocks: 0
; VGPRBlocks: 0
; NumSGPRsForWavesPerEU: 9
; NumVGPRsForWavesPerEU: 12
; NamedBarCnt: 0
; Occupancy: 16
; WaveLimiterHint : 0
; COMPUTE_PGM_RSRC2:SCRATCH_EN: 0
; COMPUTE_PGM_RSRC2:USER_SGPR: 2
; COMPUTE_PGM_RSRC2:TRAP_HANDLER: 0
; COMPUTE_PGM_RSRC2:TGID_X_EN: 1
; COMPUTE_PGM_RSRC2:TGID_Y_EN: 0
; COMPUTE_PGM_RSRC2:TGID_Z_EN: 0
; COMPUTE_PGM_RSRC2:TIDIG_COMP_CNT: 0
	.section	.text._Z6kernelI4downiLj256ELj8ELj100EEvPKT0_PS1_,"axG",@progbits,_Z6kernelI4downiLj256ELj8ELj100EEvPKT0_PS1_,comdat
	.protected	_Z6kernelI4downiLj256ELj8ELj100EEvPKT0_PS1_ ; -- Begin function _Z6kernelI4downiLj256ELj8ELj100EEvPKT0_PS1_
	.globl	_Z6kernelI4downiLj256ELj8ELj100EEvPKT0_PS1_
	.p2align	8
	.type	_Z6kernelI4downiLj256ELj8ELj100EEvPKT0_PS1_,@function
_Z6kernelI4downiLj256ELj8ELj100EEvPKT0_PS1_: ; @_Z6kernelI4downiLj256ELj8ELj100EEvPKT0_PS1_
; %bb.0:
	s_load_b128 s[0:3], s[0:1], 0x0
	s_bfe_u32 s4, ttmp6, 0x4000c
	s_and_b32 s5, ttmp6, 15
	s_add_co_i32 s4, s4, 1
	s_getreg_b32 s6, hwreg(HW_REG_IB_STS2, 6, 4)
	s_mul_i32 s4, ttmp9, s4
	v_dual_lshlrev_b32 v1, 3, v0 :: v_dual_mov_b32 v11, 0
	s_add_co_i32 s5, s5, s4
	s_cmp_eq_u32 s6, 0
	v_cmp_gt_u32_e32 vcc_lo, 0xff, v0
	s_cselect_b32 s4, ttmp9, s5
	s_delay_alu instid0(SALU_CYCLE_1) | instskip(SKIP_2) | instid1(VALU_DEP_2)
	v_lshl_or_b32 v10, s4, 11, v1
	v_lshlrev_b32_e32 v1, 2, v0
	s_wait_kmcnt 0x0
	v_lshl_add_u64 v[12:13], v[10:11], 2, s[0:1]
	s_movk_i32 s0, 0x64
	s_clause 0x1
	global_load_b128 v[2:5], v[12:13], off
	global_load_b128 v[6:9], v[12:13], off offset:16
.LBB59_1:                               ; =>This Inner Loop Header: Depth=1
	s_wait_loadcnt 0x0
	s_delay_alu instid0(VALU_DEP_1)
	v_mov_b32_e32 v13, v9
	ds_store_b32 v1, v2
	s_wait_dscnt 0x0
	s_barrier_signal -1
	s_barrier_wait -1
	s_and_saveexec_b32 s1, vcc_lo
; %bb.2:                                ;   in Loop: Header=BB59_1 Depth=1
	ds_load_b32 v13, v1 offset:4
; %bb.3:                                ;   in Loop: Header=BB59_1 Depth=1
	s_or_b32 exec_lo, exec_lo, s1
	s_add_co_i32 s0, s0, -1
	s_wait_dscnt 0x0
	s_cmp_lg_u32 s0, 0
	s_barrier_signal -1
	s_barrier_wait -1
	s_cbranch_scc0 .LBB59_5
; %bb.4:                                ;   in Loop: Header=BB59_1 Depth=1
	v_dual_mov_b32 v2, v3 :: v_dual_mov_b32 v3, v4
	v_dual_mov_b32 v4, v5 :: v_dual_mov_b32 v5, v6
	;; [unrolled: 1-line block ×4, first 2 shown]
	s_branch .LBB59_1
.LBB59_5:
	v_lshl_add_u64 v[14:15], v[10:11], 2, s[2:3]
	v_dual_mov_b32 v0, v3 :: v_dual_mov_b32 v1, v4
	v_dual_mov_b32 v2, v5 :: v_dual_mov_b32 v3, v6
	;; [unrolled: 1-line block ×3, first 2 shown]
	v_mov_b32_e32 v12, v9
	s_clause 0x1
	global_store_b128 v[14:15], v[0:3], off
	global_store_b128 v[14:15], v[10:13], off offset:16
	s_endpgm
	.section	.rodata,"a",@progbits
	.p2align	6, 0x0
	.amdhsa_kernel _Z6kernelI4downiLj256ELj8ELj100EEvPKT0_PS1_
		.amdhsa_group_segment_fixed_size 1024
		.amdhsa_private_segment_fixed_size 0
		.amdhsa_kernarg_size 16
		.amdhsa_user_sgpr_count 2
		.amdhsa_user_sgpr_dispatch_ptr 0
		.amdhsa_user_sgpr_queue_ptr 0
		.amdhsa_user_sgpr_kernarg_segment_ptr 1
		.amdhsa_user_sgpr_dispatch_id 0
		.amdhsa_user_sgpr_kernarg_preload_length 0
		.amdhsa_user_sgpr_kernarg_preload_offset 0
		.amdhsa_user_sgpr_private_segment_size 0
		.amdhsa_wavefront_size32 1
		.amdhsa_uses_dynamic_stack 0
		.amdhsa_enable_private_segment 0
		.amdhsa_system_sgpr_workgroup_id_x 1
		.amdhsa_system_sgpr_workgroup_id_y 0
		.amdhsa_system_sgpr_workgroup_id_z 0
		.amdhsa_system_sgpr_workgroup_info 0
		.amdhsa_system_vgpr_workitem_id 0
		.amdhsa_next_free_vgpr 16
		.amdhsa_next_free_sgpr 7
		.amdhsa_named_barrier_count 0
		.amdhsa_reserve_vcc 1
		.amdhsa_float_round_mode_32 0
		.amdhsa_float_round_mode_16_64 0
		.amdhsa_float_denorm_mode_32 3
		.amdhsa_float_denorm_mode_16_64 3
		.amdhsa_fp16_overflow 0
		.amdhsa_memory_ordered 1
		.amdhsa_forward_progress 1
		.amdhsa_inst_pref_size 3
		.amdhsa_round_robin_scheduling 0
		.amdhsa_exception_fp_ieee_invalid_op 0
		.amdhsa_exception_fp_denorm_src 0
		.amdhsa_exception_fp_ieee_div_zero 0
		.amdhsa_exception_fp_ieee_overflow 0
		.amdhsa_exception_fp_ieee_underflow 0
		.amdhsa_exception_fp_ieee_inexact 0
		.amdhsa_exception_int_div_zero 0
	.end_amdhsa_kernel
	.section	.text._Z6kernelI4downiLj256ELj8ELj100EEvPKT0_PS1_,"axG",@progbits,_Z6kernelI4downiLj256ELj8ELj100EEvPKT0_PS1_,comdat
.Lfunc_end59:
	.size	_Z6kernelI4downiLj256ELj8ELj100EEvPKT0_PS1_, .Lfunc_end59-_Z6kernelI4downiLj256ELj8ELj100EEvPKT0_PS1_
                                        ; -- End function
	.set _Z6kernelI4downiLj256ELj8ELj100EEvPKT0_PS1_.num_vgpr, 16
	.set _Z6kernelI4downiLj256ELj8ELj100EEvPKT0_PS1_.num_agpr, 0
	.set _Z6kernelI4downiLj256ELj8ELj100EEvPKT0_PS1_.numbered_sgpr, 7
	.set _Z6kernelI4downiLj256ELj8ELj100EEvPKT0_PS1_.num_named_barrier, 0
	.set _Z6kernelI4downiLj256ELj8ELj100EEvPKT0_PS1_.private_seg_size, 0
	.set _Z6kernelI4downiLj256ELj8ELj100EEvPKT0_PS1_.uses_vcc, 1
	.set _Z6kernelI4downiLj256ELj8ELj100EEvPKT0_PS1_.uses_flat_scratch, 0
	.set _Z6kernelI4downiLj256ELj8ELj100EEvPKT0_PS1_.has_dyn_sized_stack, 0
	.set _Z6kernelI4downiLj256ELj8ELj100EEvPKT0_PS1_.has_recursion, 0
	.set _Z6kernelI4downiLj256ELj8ELj100EEvPKT0_PS1_.has_indirect_call, 0
	.section	.AMDGPU.csdata,"",@progbits
; Kernel info:
; codeLenInByte = 300
; TotalNumSgprs: 9
; NumVgprs: 16
; ScratchSize: 0
; MemoryBound: 0
; FloatMode: 240
; IeeeMode: 1
; LDSByteSize: 1024 bytes/workgroup (compile time only)
; SGPRBlocks: 0
; VGPRBlocks: 0
; NumSGPRsForWavesPerEU: 9
; NumVGPRsForWavesPerEU: 16
; NamedBarCnt: 0
; Occupancy: 16
; WaveLimiterHint : 0
; COMPUTE_PGM_RSRC2:SCRATCH_EN: 0
; COMPUTE_PGM_RSRC2:USER_SGPR: 2
; COMPUTE_PGM_RSRC2:TRAP_HANDLER: 0
; COMPUTE_PGM_RSRC2:TGID_X_EN: 1
; COMPUTE_PGM_RSRC2:TGID_Y_EN: 0
; COMPUTE_PGM_RSRC2:TGID_Z_EN: 0
; COMPUTE_PGM_RSRC2:TIDIG_COMP_CNT: 0
	.section	.text._Z6kernelI4downiLj256ELj16ELj100EEvPKT0_PS1_,"axG",@progbits,_Z6kernelI4downiLj256ELj16ELj100EEvPKT0_PS1_,comdat
	.protected	_Z6kernelI4downiLj256ELj16ELj100EEvPKT0_PS1_ ; -- Begin function _Z6kernelI4downiLj256ELj16ELj100EEvPKT0_PS1_
	.globl	_Z6kernelI4downiLj256ELj16ELj100EEvPKT0_PS1_
	.p2align	8
	.type	_Z6kernelI4downiLj256ELj16ELj100EEvPKT0_PS1_,@function
_Z6kernelI4downiLj256ELj16ELj100EEvPKT0_PS1_: ; @_Z6kernelI4downiLj256ELj16ELj100EEvPKT0_PS1_
; %bb.0:
	s_load_b128 s[0:3], s[0:1], 0x0
	s_bfe_u32 s4, ttmp6, 0x4000c
	s_and_b32 s5, ttmp6, 15
	s_add_co_i32 s4, s4, 1
	s_getreg_b32 s6, hwreg(HW_REG_IB_STS2, 6, 4)
	s_mul_i32 s4, ttmp9, s4
	v_dual_lshlrev_b32 v1, 4, v0 :: v_dual_mov_b32 v25, 0
	s_add_co_i32 s5, s5, s4
	s_cmp_eq_u32 s6, 0
	v_cmp_gt_u32_e32 vcc_lo, 0xff, v0
	s_cselect_b32 s4, ttmp9, s5
	s_delay_alu instid0(SALU_CYCLE_1) | instskip(SKIP_1) | instid1(VALU_DEP_1)
	v_lshl_or_b32 v24, s4, 12, v1
	s_wait_kmcnt 0x0
	v_lshl_add_u64 v[2:3], v[24:25], 2, s[0:1]
	s_clause 0xb
	global_load_b32 v1, v24, s[0:1] offset:56 scale_offset
	global_load_b96 v[20:22], v[2:3], off
	global_load_b64 v[34:35], v[2:3], off offset:8
	global_load_b128 v[16:19], v[2:3], off offset:40
	global_load_b64 v[6:7], v[2:3], off offset:12
	global_load_b64 v[28:29], v[2:3], off offset:16
	;; [unrolled: 1-line block ×8, first 2 shown]
	v_lshlrev_b32_e32 v23, 2, v0
	s_wait_xcnt 0xb
	s_movk_i32 s0, 0x64
	s_wait_loadcnt 0xa
	v_dual_mov_b32 v4, v21 :: v_dual_mov_b32 v5, v22
	s_wait_loadcnt 0x8
	v_dual_mov_b32 v0, v19 :: v_dual_mov_b32 v14, v17
	v_mov_b32_e32 v15, v18
.LBB60_1:                               ; =>This Inner Loop Header: Depth=1
	s_wait_loadcnt 0x0
	s_delay_alu instid0(VALU_DEP_1)
	v_mov_b32_e32 v3, v33
	ds_store_b32 v23, v20
	s_wait_dscnt 0x0
	s_barrier_signal -1
	s_barrier_wait -1
	s_and_saveexec_b32 s1, vcc_lo
; %bb.2:                                ;   in Loop: Header=BB60_1 Depth=1
	ds_load_b32 v3, v23 offset:4
; %bb.3:                                ;   in Loop: Header=BB60_1 Depth=1
	s_or_b32 exec_lo, exec_lo, s1
	s_add_co_i32 s0, s0, -1
	s_wait_dscnt 0x0
	s_cmp_lg_u32 s0, 0
	s_barrier_signal -1
	s_barrier_wait -1
	s_cbranch_scc0 .LBB60_5
; %bb.4:                                ;   in Loop: Header=BB60_1 Depth=1
	v_dual_mov_b32 v18, v15 :: v_dual_mov_b32 v19, v0
	v_dual_mov_b32 v2, v33 :: v_dual_mov_b32 v20, v4
	v_mov_b64_e32 v[4:5], v[34:35]
	v_mov_b64_e32 v[34:35], v[6:7]
	v_mov_b64_e32 v[6:7], v[28:29]
	v_mov_b64_e32 v[28:29], v[8:9]
	v_mov_b64_e32 v[8:9], v[30:31]
	v_mov_b64_e32 v[30:31], v[10:11]
	v_mov_b64_e32 v[10:11], v[26:27]
	v_mov_b64_e32 v[26:27], v[12:13]
	v_mov_b64_e32 v[12:13], v[16:17]
	v_mov_b64_e32 v[16:17], v[14:15]
	v_mov_b64_e32 v[14:15], v[18:19]
	v_mov_b64_e32 v[0:1], v[32:33]
	v_mov_b64_e32 v[32:33], v[2:3]
	s_branch .LBB60_1
.LBB60_5:
	v_lshl_add_u64 v[18:19], v[24:25], 2, s[2:3]
	v_dual_mov_b32 v6, v35 :: v_dual_mov_b32 v8, v29
	v_dual_mov_b32 v10, v31 :: v_dual_mov_b32 v12, v27
	;; [unrolled: 1-line block ×3, first 2 shown]
	s_clause 0x3
	global_store_b128 v[18:19], v[4:7], off
	global_store_b128 v[18:19], v[8:11], off offset:16
	global_store_b128 v[18:19], v[12:15], off offset:32
	;; [unrolled: 1-line block ×3, first 2 shown]
	s_endpgm
	.section	.rodata,"a",@progbits
	.p2align	6, 0x0
	.amdhsa_kernel _Z6kernelI4downiLj256ELj16ELj100EEvPKT0_PS1_
		.amdhsa_group_segment_fixed_size 1024
		.amdhsa_private_segment_fixed_size 0
		.amdhsa_kernarg_size 16
		.amdhsa_user_sgpr_count 2
		.amdhsa_user_sgpr_dispatch_ptr 0
		.amdhsa_user_sgpr_queue_ptr 0
		.amdhsa_user_sgpr_kernarg_segment_ptr 1
		.amdhsa_user_sgpr_dispatch_id 0
		.amdhsa_user_sgpr_kernarg_preload_length 0
		.amdhsa_user_sgpr_kernarg_preload_offset 0
		.amdhsa_user_sgpr_private_segment_size 0
		.amdhsa_wavefront_size32 1
		.amdhsa_uses_dynamic_stack 0
		.amdhsa_enable_private_segment 0
		.amdhsa_system_sgpr_workgroup_id_x 1
		.amdhsa_system_sgpr_workgroup_id_y 0
		.amdhsa_system_sgpr_workgroup_id_z 0
		.amdhsa_system_sgpr_workgroup_info 0
		.amdhsa_system_vgpr_workitem_id 0
		.amdhsa_next_free_vgpr 36
		.amdhsa_next_free_sgpr 7
		.amdhsa_named_barrier_count 0
		.amdhsa_reserve_vcc 1
		.amdhsa_float_round_mode_32 0
		.amdhsa_float_round_mode_16_64 0
		.amdhsa_float_denorm_mode_32 3
		.amdhsa_float_denorm_mode_16_64 3
		.amdhsa_fp16_overflow 0
		.amdhsa_memory_ordered 1
		.amdhsa_forward_progress 1
		.amdhsa_inst_pref_size 5
		.amdhsa_round_robin_scheduling 0
		.amdhsa_exception_fp_ieee_invalid_op 0
		.amdhsa_exception_fp_denorm_src 0
		.amdhsa_exception_fp_ieee_div_zero 0
		.amdhsa_exception_fp_ieee_overflow 0
		.amdhsa_exception_fp_ieee_underflow 0
		.amdhsa_exception_fp_ieee_inexact 0
		.amdhsa_exception_int_div_zero 0
	.end_amdhsa_kernel
	.section	.text._Z6kernelI4downiLj256ELj16ELj100EEvPKT0_PS1_,"axG",@progbits,_Z6kernelI4downiLj256ELj16ELj100EEvPKT0_PS1_,comdat
.Lfunc_end60:
	.size	_Z6kernelI4downiLj256ELj16ELj100EEvPKT0_PS1_, .Lfunc_end60-_Z6kernelI4downiLj256ELj16ELj100EEvPKT0_PS1_
                                        ; -- End function
	.set _Z6kernelI4downiLj256ELj16ELj100EEvPKT0_PS1_.num_vgpr, 36
	.set _Z6kernelI4downiLj256ELj16ELj100EEvPKT0_PS1_.num_agpr, 0
	.set _Z6kernelI4downiLj256ELj16ELj100EEvPKT0_PS1_.numbered_sgpr, 7
	.set _Z6kernelI4downiLj256ELj16ELj100EEvPKT0_PS1_.num_named_barrier, 0
	.set _Z6kernelI4downiLj256ELj16ELj100EEvPKT0_PS1_.private_seg_size, 0
	.set _Z6kernelI4downiLj256ELj16ELj100EEvPKT0_PS1_.uses_vcc, 1
	.set _Z6kernelI4downiLj256ELj16ELj100EEvPKT0_PS1_.uses_flat_scratch, 0
	.set _Z6kernelI4downiLj256ELj16ELj100EEvPKT0_PS1_.has_dyn_sized_stack, 0
	.set _Z6kernelI4downiLj256ELj16ELj100EEvPKT0_PS1_.has_recursion, 0
	.set _Z6kernelI4downiLj256ELj16ELj100EEvPKT0_PS1_.has_indirect_call, 0
	.section	.AMDGPU.csdata,"",@progbits
; Kernel info:
; codeLenInByte = 528
; TotalNumSgprs: 9
; NumVgprs: 36
; ScratchSize: 0
; MemoryBound: 0
; FloatMode: 240
; IeeeMode: 1
; LDSByteSize: 1024 bytes/workgroup (compile time only)
; SGPRBlocks: 0
; VGPRBlocks: 2
; NumSGPRsForWavesPerEU: 9
; NumVGPRsForWavesPerEU: 36
; NamedBarCnt: 0
; Occupancy: 16
; WaveLimiterHint : 0
; COMPUTE_PGM_RSRC2:SCRATCH_EN: 0
; COMPUTE_PGM_RSRC2:USER_SGPR: 2
; COMPUTE_PGM_RSRC2:TRAP_HANDLER: 0
; COMPUTE_PGM_RSRC2:TGID_X_EN: 1
; COMPUTE_PGM_RSRC2:TGID_Y_EN: 0
; COMPUTE_PGM_RSRC2:TGID_Z_EN: 0
; COMPUTE_PGM_RSRC2:TIDIG_COMP_CNT: 0
	.section	.text._Z6kernelI4downiLj256ELj32ELj100EEvPKT0_PS1_,"axG",@progbits,_Z6kernelI4downiLj256ELj32ELj100EEvPKT0_PS1_,comdat
	.protected	_Z6kernelI4downiLj256ELj32ELj100EEvPKT0_PS1_ ; -- Begin function _Z6kernelI4downiLj256ELj32ELj100EEvPKT0_PS1_
	.globl	_Z6kernelI4downiLj256ELj32ELj100EEvPKT0_PS1_
	.p2align	8
	.type	_Z6kernelI4downiLj256ELj32ELj100EEvPKT0_PS1_,@function
_Z6kernelI4downiLj256ELj32ELj100EEvPKT0_PS1_: ; @_Z6kernelI4downiLj256ELj32ELj100EEvPKT0_PS1_
; %bb.0:
	s_load_b128 s[0:3], s[0:1], 0x0
	s_bfe_u32 s4, ttmp6, 0x4000c
	s_and_b32 s5, ttmp6, 15
	s_add_co_i32 s4, s4, 1
	s_getreg_b32 s6, hwreg(HW_REG_IB_STS2, 6, 4)
	s_mul_i32 s4, ttmp9, s4
	v_dual_lshlrev_b32 v1, 5, v0 :: v_dual_mov_b32 v45, 0
	s_add_co_i32 s5, s5, s4
	s_cmp_eq_u32 s6, 0
	v_cmp_gt_u32_e32 vcc_lo, 0xff, v0
	s_cselect_b32 s4, ttmp9, s5
	s_delay_alu instid0(SALU_CYCLE_1) | instskip(SKIP_1) | instid1(VALU_DEP_1)
	v_lshl_or_b32 v44, s4, 13, v1
	s_wait_kmcnt 0x0
	v_lshl_add_u64 v[10:11], v[44:45], 2, s[0:1]
	s_clause 0x19
	global_load_b32 v5, v44, s[0:1] offset:56 scale_offset
	global_load_b32 v1, v44, s[0:1] offset:104 scale_offset
	global_load_b96 v[40:42], v[10:11], off
	global_load_b64 v[62:63], v[10:11], off offset:8
	global_load_b64 v[34:35], v[10:11], off offset:12
	;; [unrolled: 1-line block ×8, first 2 shown]
	global_load_b128 v[36:39], v[10:11], off offset:40
	global_load_b64 v[54:55], v[10:11], off offset:56
	global_load_b64 v[14:15], v[10:11], off offset:76
	;; [unrolled: 1-line block ×3, first 2 shown]
	; meta instruction
	global_load_b64 v[16:17], v[10:11], off offset:84
	global_load_b128 v[24:27], v[10:11], off offset:88
	global_load_b64 v[46:47], v[10:11], off offset:104
	global_load_b64 v[6:7], v[10:11], off offset:60
	;; [unrolled: 1-line block ×9, first 2 shown]
	v_lshlrev_b32_e32 v43, 2, v0
	s_wait_xcnt 0x18
	s_movk_i32 s0, 0x64
	s_wait_loadcnt 0x17
	v_dual_mov_b32 v32, v41 :: v_dual_mov_b32 v33, v42
	s_wait_loadcnt 0xe
	s_wait_xcnt 0x0
	v_dual_mov_b32 v4, v39 :: v_dual_mov_b32 v11, v38
	s_wait_loadcnt 0x9
	v_dual_mov_b32 v10, v37 :: v_dual_mov_b32 v0, v27
	v_dual_mov_b32 v18, v25 :: v_dual_mov_b32 v19, v26
.LBB61_1:                               ; =>This Inner Loop Header: Depth=1
	s_wait_loadcnt 0x1
	s_delay_alu instid0(VALU_DEP_1)
	v_mov_b32_e32 v23, v51
	ds_store_b32 v43, v40
	s_wait_loadcnt_dscnt 0x0
	s_barrier_signal -1
	s_barrier_wait -1
	s_and_saveexec_b32 s1, vcc_lo
; %bb.2:                                ;   in Loop: Header=BB61_1 Depth=1
	ds_load_b32 v23, v43 offset:4
; %bb.3:                                ;   in Loop: Header=BB61_1 Depth=1
	s_or_b32 exec_lo, exec_lo, s1
	s_add_co_i32 s0, s0, -1
	s_wait_dscnt 0x0
	s_cmp_lg_u32 s0, 0
	s_barrier_signal -1
	s_barrier_wait -1
	s_cbranch_scc0 .LBB61_5
; %bb.4:                                ;   in Loop: Header=BB61_1 Depth=1
	v_dual_mov_b32 v38, v11 :: v_dual_mov_b32 v39, v4
	v_dual_mov_b32 v26, v19 :: v_dual_mov_b32 v27, v0
	;; [unrolled: 1-line block ×3, first 2 shown]
	v_mov_b64_e32 v[32:33], v[62:63]
	v_mov_b64_e32 v[62:63], v[34:35]
	;; [unrolled: 1-line block ×28, first 2 shown]
	s_branch .LBB61_1
.LBB61_5:
	v_lshl_add_u64 v[26:27], v[44:45], 2, s[2:3]
	v_dual_mov_b32 v34, v63 :: v_dual_mov_b32 v28, v59
	v_dual_mov_b32 v30, v61 :: v_dual_mov_b32 v8, v57
	v_dual_mov_b32 v10, v37 :: v_dual_mov_b32 v6, v55
	v_dual_mov_b32 v12, v65 :: v_dual_mov_b32 v14, v67
	v_dual_mov_b32 v16, v49 :: v_dual_mov_b32 v18, v25
	v_dual_mov_b32 v2, v47 :: v_dual_mov_b32 v20, v53
	s_clause 0x1
	global_store_b128 v[26:27], v[32:35], off
	global_store_b128 v[26:27], v[28:31], off offset:16
	v_mov_b32_e32 v22, v51
	s_clause 0x5
	global_store_b128 v[26:27], v[8:11], off offset:32
	global_store_b128 v[26:27], v[4:7], off offset:48
	;; [unrolled: 1-line block ×6, first 2 shown]
	s_sendmsg sendmsg(MSG_DEALLOC_VGPRS)
	s_endpgm
	.section	.rodata,"a",@progbits
	.p2align	6, 0x0
	.amdhsa_kernel _Z6kernelI4downiLj256ELj32ELj100EEvPKT0_PS1_
		.amdhsa_group_segment_fixed_size 1024
		.amdhsa_private_segment_fixed_size 0
		.amdhsa_kernarg_size 16
		.amdhsa_user_sgpr_count 2
		.amdhsa_user_sgpr_dispatch_ptr 0
		.amdhsa_user_sgpr_queue_ptr 0
		.amdhsa_user_sgpr_kernarg_segment_ptr 1
		.amdhsa_user_sgpr_dispatch_id 0
		.amdhsa_user_sgpr_kernarg_preload_length 0
		.amdhsa_user_sgpr_kernarg_preload_offset 0
		.amdhsa_user_sgpr_private_segment_size 0
		.amdhsa_wavefront_size32 1
		.amdhsa_uses_dynamic_stack 0
		.amdhsa_enable_private_segment 0
		.amdhsa_system_sgpr_workgroup_id_x 1
		.amdhsa_system_sgpr_workgroup_id_y 0
		.amdhsa_system_sgpr_workgroup_id_z 0
		.amdhsa_system_sgpr_workgroup_info 0
		.amdhsa_system_vgpr_workitem_id 0
		.amdhsa_next_free_vgpr 68
		.amdhsa_next_free_sgpr 7
		.amdhsa_named_barrier_count 0
		.amdhsa_reserve_vcc 1
		.amdhsa_float_round_mode_32 0
		.amdhsa_float_round_mode_16_64 0
		.amdhsa_float_denorm_mode_32 3
		.amdhsa_float_denorm_mode_16_64 3
		.amdhsa_fp16_overflow 0
		.amdhsa_memory_ordered 1
		.amdhsa_forward_progress 1
		.amdhsa_inst_pref_size 7
		.amdhsa_round_robin_scheduling 0
		.amdhsa_exception_fp_ieee_invalid_op 0
		.amdhsa_exception_fp_denorm_src 0
		.amdhsa_exception_fp_ieee_div_zero 0
		.amdhsa_exception_fp_ieee_overflow 0
		.amdhsa_exception_fp_ieee_underflow 0
		.amdhsa_exception_fp_ieee_inexact 0
		.amdhsa_exception_int_div_zero 0
	.end_amdhsa_kernel
	.section	.text._Z6kernelI4downiLj256ELj32ELj100EEvPKT0_PS1_,"axG",@progbits,_Z6kernelI4downiLj256ELj32ELj100EEvPKT0_PS1_,comdat
.Lfunc_end61:
	.size	_Z6kernelI4downiLj256ELj32ELj100EEvPKT0_PS1_, .Lfunc_end61-_Z6kernelI4downiLj256ELj32ELj100EEvPKT0_PS1_
                                        ; -- End function
	.set _Z6kernelI4downiLj256ELj32ELj100EEvPKT0_PS1_.num_vgpr, 68
	.set _Z6kernelI4downiLj256ELj32ELj100EEvPKT0_PS1_.num_agpr, 0
	.set _Z6kernelI4downiLj256ELj32ELj100EEvPKT0_PS1_.numbered_sgpr, 7
	.set _Z6kernelI4downiLj256ELj32ELj100EEvPKT0_PS1_.num_named_barrier, 0
	.set _Z6kernelI4downiLj256ELj32ELj100EEvPKT0_PS1_.private_seg_size, 0
	.set _Z6kernelI4downiLj256ELj32ELj100EEvPKT0_PS1_.uses_vcc, 1
	.set _Z6kernelI4downiLj256ELj32ELj100EEvPKT0_PS1_.uses_flat_scratch, 0
	.set _Z6kernelI4downiLj256ELj32ELj100EEvPKT0_PS1_.has_dyn_sized_stack, 0
	.set _Z6kernelI4downiLj256ELj32ELj100EEvPKT0_PS1_.has_recursion, 0
	.set _Z6kernelI4downiLj256ELj32ELj100EEvPKT0_PS1_.has_indirect_call, 0
	.section	.AMDGPU.csdata,"",@progbits
; Kernel info:
; codeLenInByte = 880
; TotalNumSgprs: 9
; NumVgprs: 68
; ScratchSize: 0
; MemoryBound: 0
; FloatMode: 240
; IeeeMode: 1
; LDSByteSize: 1024 bytes/workgroup (compile time only)
; SGPRBlocks: 0
; VGPRBlocks: 4
; NumSGPRsForWavesPerEU: 9
; NumVGPRsForWavesPerEU: 68
; NamedBarCnt: 0
; Occupancy: 12
; WaveLimiterHint : 0
; COMPUTE_PGM_RSRC2:SCRATCH_EN: 0
; COMPUTE_PGM_RSRC2:USER_SGPR: 2
; COMPUTE_PGM_RSRC2:TRAP_HANDLER: 0
; COMPUTE_PGM_RSRC2:TGID_X_EN: 1
; COMPUTE_PGM_RSRC2:TGID_Y_EN: 0
; COMPUTE_PGM_RSRC2:TGID_Z_EN: 0
; COMPUTE_PGM_RSRC2:TIDIG_COMP_CNT: 0
	.section	.text._Z6kernelI4downfLj256ELj1ELj100EEvPKT0_PS1_,"axG",@progbits,_Z6kernelI4downfLj256ELj1ELj100EEvPKT0_PS1_,comdat
	.protected	_Z6kernelI4downfLj256ELj1ELj100EEvPKT0_PS1_ ; -- Begin function _Z6kernelI4downfLj256ELj1ELj100EEvPKT0_PS1_
	.globl	_Z6kernelI4downfLj256ELj1ELj100EEvPKT0_PS1_
	.p2align	8
	.type	_Z6kernelI4downfLj256ELj1ELj100EEvPKT0_PS1_,@function
_Z6kernelI4downfLj256ELj1ELj100EEvPKT0_PS1_: ; @_Z6kernelI4downfLj256ELj1ELj100EEvPKT0_PS1_
; %bb.0:
	s_load_b128 s[0:3], s[0:1], 0x0
	s_bfe_u32 s4, ttmp6, 0x4000c
	s_and_b32 s5, ttmp6, 15
	s_add_co_i32 s4, s4, 1
	s_getreg_b32 s6, hwreg(HW_REG_IB_STS2, 6, 4)
	s_mul_i32 s4, ttmp9, s4
	v_dual_mov_b32 v3, 0 :: v_dual_lshlrev_b32 v4, 2, v0
	s_add_co_i32 s5, s5, s4
	s_cmp_eq_u32 s6, 0
	v_cmp_gt_u32_e32 vcc_lo, 0xff, v0
	s_cselect_b32 s4, ttmp9, s5
	s_delay_alu instid0(SALU_CYCLE_1)
	v_lshl_or_b32 v2, s4, 8, v0
	s_wait_kmcnt 0x0
	global_load_b32 v1, v2, s[0:1] scale_offset
	s_wait_xcnt 0x0
	s_movk_i32 s0, 0x64
	s_branch .LBB62_2
.LBB62_1:                               ;   in Loop: Header=BB62_2 Depth=1
	s_or_b32 exec_lo, exec_lo, s1
	s_add_co_i32 s0, s0, -1
	s_wait_dscnt 0x0
	s_cmp_lg_u32 s0, 0
	s_barrier_signal -1
	s_barrier_wait -1
	s_cbranch_scc0 .LBB62_4
.LBB62_2:                               ; =>This Inner Loop Header: Depth=1
	s_wait_loadcnt 0x0
	ds_store_b32 v4, v1
	s_wait_dscnt 0x0
	s_barrier_signal -1
	s_barrier_wait -1
	s_and_saveexec_b32 s1, vcc_lo
	s_cbranch_execz .LBB62_1
; %bb.3:                                ;   in Loop: Header=BB62_2 Depth=1
	ds_load_b32 v1, v4 offset:4
	s_branch .LBB62_1
.LBB62_4:
	v_lshl_add_u64 v[2:3], v[2:3], 2, s[2:3]
	global_store_b32 v[2:3], v1, off
	s_endpgm
	.section	.rodata,"a",@progbits
	.p2align	6, 0x0
	.amdhsa_kernel _Z6kernelI4downfLj256ELj1ELj100EEvPKT0_PS1_
		.amdhsa_group_segment_fixed_size 1024
		.amdhsa_private_segment_fixed_size 0
		.amdhsa_kernarg_size 16
		.amdhsa_user_sgpr_count 2
		.amdhsa_user_sgpr_dispatch_ptr 0
		.amdhsa_user_sgpr_queue_ptr 0
		.amdhsa_user_sgpr_kernarg_segment_ptr 1
		.amdhsa_user_sgpr_dispatch_id 0
		.amdhsa_user_sgpr_kernarg_preload_length 0
		.amdhsa_user_sgpr_kernarg_preload_offset 0
		.amdhsa_user_sgpr_private_segment_size 0
		.amdhsa_wavefront_size32 1
		.amdhsa_uses_dynamic_stack 0
		.amdhsa_enable_private_segment 0
		.amdhsa_system_sgpr_workgroup_id_x 1
		.amdhsa_system_sgpr_workgroup_id_y 0
		.amdhsa_system_sgpr_workgroup_id_z 0
		.amdhsa_system_sgpr_workgroup_info 0
		.amdhsa_system_vgpr_workitem_id 0
		.amdhsa_next_free_vgpr 5
		.amdhsa_next_free_sgpr 7
		.amdhsa_named_barrier_count 0
		.amdhsa_reserve_vcc 1
		.amdhsa_float_round_mode_32 0
		.amdhsa_float_round_mode_16_64 0
		.amdhsa_float_denorm_mode_32 3
		.amdhsa_float_denorm_mode_16_64 3
		.amdhsa_fp16_overflow 0
		.amdhsa_memory_ordered 1
		.amdhsa_forward_progress 1
		.amdhsa_inst_pref_size 2
		.amdhsa_round_robin_scheduling 0
		.amdhsa_exception_fp_ieee_invalid_op 0
		.amdhsa_exception_fp_denorm_src 0
		.amdhsa_exception_fp_ieee_div_zero 0
		.amdhsa_exception_fp_ieee_overflow 0
		.amdhsa_exception_fp_ieee_underflow 0
		.amdhsa_exception_fp_ieee_inexact 0
		.amdhsa_exception_int_div_zero 0
	.end_amdhsa_kernel
	.section	.text._Z6kernelI4downfLj256ELj1ELj100EEvPKT0_PS1_,"axG",@progbits,_Z6kernelI4downfLj256ELj1ELj100EEvPKT0_PS1_,comdat
.Lfunc_end62:
	.size	_Z6kernelI4downfLj256ELj1ELj100EEvPKT0_PS1_, .Lfunc_end62-_Z6kernelI4downfLj256ELj1ELj100EEvPKT0_PS1_
                                        ; -- End function
	.set _Z6kernelI4downfLj256ELj1ELj100EEvPKT0_PS1_.num_vgpr, 5
	.set _Z6kernelI4downfLj256ELj1ELj100EEvPKT0_PS1_.num_agpr, 0
	.set _Z6kernelI4downfLj256ELj1ELj100EEvPKT0_PS1_.numbered_sgpr, 7
	.set _Z6kernelI4downfLj256ELj1ELj100EEvPKT0_PS1_.num_named_barrier, 0
	.set _Z6kernelI4downfLj256ELj1ELj100EEvPKT0_PS1_.private_seg_size, 0
	.set _Z6kernelI4downfLj256ELj1ELj100EEvPKT0_PS1_.uses_vcc, 1
	.set _Z6kernelI4downfLj256ELj1ELj100EEvPKT0_PS1_.uses_flat_scratch, 0
	.set _Z6kernelI4downfLj256ELj1ELj100EEvPKT0_PS1_.has_dyn_sized_stack, 0
	.set _Z6kernelI4downfLj256ELj1ELj100EEvPKT0_PS1_.has_recursion, 0
	.set _Z6kernelI4downfLj256ELj1ELj100EEvPKT0_PS1_.has_indirect_call, 0
	.section	.AMDGPU.csdata,"",@progbits
; Kernel info:
; codeLenInByte = 196
; TotalNumSgprs: 9
; NumVgprs: 5
; ScratchSize: 0
; MemoryBound: 0
; FloatMode: 240
; IeeeMode: 1
; LDSByteSize: 1024 bytes/workgroup (compile time only)
; SGPRBlocks: 0
; VGPRBlocks: 0
; NumSGPRsForWavesPerEU: 9
; NumVGPRsForWavesPerEU: 5
; NamedBarCnt: 0
; Occupancy: 16
; WaveLimiterHint : 0
; COMPUTE_PGM_RSRC2:SCRATCH_EN: 0
; COMPUTE_PGM_RSRC2:USER_SGPR: 2
; COMPUTE_PGM_RSRC2:TRAP_HANDLER: 0
; COMPUTE_PGM_RSRC2:TGID_X_EN: 1
; COMPUTE_PGM_RSRC2:TGID_Y_EN: 0
; COMPUTE_PGM_RSRC2:TGID_Z_EN: 0
; COMPUTE_PGM_RSRC2:TIDIG_COMP_CNT: 0
	.section	.text._Z6kernelI4downfLj256ELj3ELj100EEvPKT0_PS1_,"axG",@progbits,_Z6kernelI4downfLj256ELj3ELj100EEvPKT0_PS1_,comdat
	.protected	_Z6kernelI4downfLj256ELj3ELj100EEvPKT0_PS1_ ; -- Begin function _Z6kernelI4downfLj256ELj3ELj100EEvPKT0_PS1_
	.globl	_Z6kernelI4downfLj256ELj3ELj100EEvPKT0_PS1_
	.p2align	8
	.type	_Z6kernelI4downfLj256ELj3ELj100EEvPKT0_PS1_,@function
_Z6kernelI4downfLj256ELj3ELj100EEvPKT0_PS1_: ; @_Z6kernelI4downfLj256ELj3ELj100EEvPKT0_PS1_
; %bb.0:
	s_bfe_u32 s4, ttmp6, 0x4000c
	s_and_b32 s5, ttmp6, 15
	s_add_co_i32 s4, s4, 1
	s_getreg_b32 s6, hwreg(HW_REG_IB_STS2, 6, 4)
	s_mul_i32 s4, ttmp9, s4
	s_load_b128 s[0:3], s[0:1], 0x0
	s_add_co_i32 s5, s5, s4
	s_cmp_eq_u32 s6, 0
	v_dual_mov_b32 v3, 0 :: v_dual_lshlrev_b32 v9, 2, v0
	s_cselect_b32 s4, ttmp9, s5
	v_cmp_gt_u32_e32 vcc_lo, 0xff, v0
	v_lshl_or_b32 v1, s4, 8, v0
	s_delay_alu instid0(VALU_DEP_3) | instskip(NEXT) | instid1(VALU_DEP_2)
	v_dual_mov_b32 v7, v3 :: v_dual_mov_b32 v5, v3
	v_lshl_add_u32 v2, v1, 1, v1
	s_delay_alu instid0(VALU_DEP_1)
	v_dual_add_nc_u32 v4, 2, v2 :: v_dual_add_nc_u32 v6, 1, v2
	s_wait_kmcnt 0x0
	s_clause 0x2
	global_load_b32 v1, v4, s[0:1] scale_offset
	global_load_b32 v10, v2, s[0:1] scale_offset
	;; [unrolled: 1-line block ×3, first 2 shown]
	s_wait_xcnt 0x0
	s_movk_i32 s0, 0x64
	s_wait_loadcnt 0x2
	v_mov_b32_e32 v0, v1
.LBB63_1:                               ; =>This Inner Loop Header: Depth=1
	s_wait_loadcnt 0x1
	ds_store_b32 v9, v10
	s_wait_loadcnt_dscnt 0x0
	s_barrier_signal -1
	s_barrier_wait -1
	s_and_saveexec_b32 s1, vcc_lo
; %bb.2:                                ;   in Loop: Header=BB63_1 Depth=1
	ds_load_b32 v0, v9 offset:4
; %bb.3:                                ;   in Loop: Header=BB63_1 Depth=1
	s_or_b32 exec_lo, exec_lo, s1
	s_add_co_i32 s0, s0, -1
	s_wait_dscnt 0x0
	s_cmp_lg_u32 s0, 0
	s_barrier_signal -1
	s_barrier_wait -1
	s_cbranch_scc0 .LBB63_5
; %bb.4:                                ;   in Loop: Header=BB63_1 Depth=1
	v_dual_mov_b32 v10, v8 :: v_dual_mov_b32 v8, v1
	v_mov_b32_e32 v1, v0
	s_branch .LBB63_1
.LBB63_5:
	v_lshl_add_u64 v[2:3], v[2:3], 2, s[2:3]
	v_lshl_add_u64 v[6:7], v[6:7], 2, s[2:3]
	;; [unrolled: 1-line block ×3, first 2 shown]
	s_clause 0x2
	global_store_b32 v[2:3], v8, off
	global_store_b32 v[6:7], v1, off
	;; [unrolled: 1-line block ×3, first 2 shown]
	s_endpgm
	.section	.rodata,"a",@progbits
	.p2align	6, 0x0
	.amdhsa_kernel _Z6kernelI4downfLj256ELj3ELj100EEvPKT0_PS1_
		.amdhsa_group_segment_fixed_size 1024
		.amdhsa_private_segment_fixed_size 0
		.amdhsa_kernarg_size 16
		.amdhsa_user_sgpr_count 2
		.amdhsa_user_sgpr_dispatch_ptr 0
		.amdhsa_user_sgpr_queue_ptr 0
		.amdhsa_user_sgpr_kernarg_segment_ptr 1
		.amdhsa_user_sgpr_dispatch_id 0
		.amdhsa_user_sgpr_kernarg_preload_length 0
		.amdhsa_user_sgpr_kernarg_preload_offset 0
		.amdhsa_user_sgpr_private_segment_size 0
		.amdhsa_wavefront_size32 1
		.amdhsa_uses_dynamic_stack 0
		.amdhsa_enable_private_segment 0
		.amdhsa_system_sgpr_workgroup_id_x 1
		.amdhsa_system_sgpr_workgroup_id_y 0
		.amdhsa_system_sgpr_workgroup_id_z 0
		.amdhsa_system_sgpr_workgroup_info 0
		.amdhsa_system_vgpr_workitem_id 0
		.amdhsa_next_free_vgpr 11
		.amdhsa_next_free_sgpr 7
		.amdhsa_named_barrier_count 0
		.amdhsa_reserve_vcc 1
		.amdhsa_float_round_mode_32 0
		.amdhsa_float_round_mode_16_64 0
		.amdhsa_float_denorm_mode_32 3
		.amdhsa_float_denorm_mode_16_64 3
		.amdhsa_fp16_overflow 0
		.amdhsa_memory_ordered 1
		.amdhsa_forward_progress 1
		.amdhsa_inst_pref_size 3
		.amdhsa_round_robin_scheduling 0
		.amdhsa_exception_fp_ieee_invalid_op 0
		.amdhsa_exception_fp_denorm_src 0
		.amdhsa_exception_fp_ieee_div_zero 0
		.amdhsa_exception_fp_ieee_overflow 0
		.amdhsa_exception_fp_ieee_underflow 0
		.amdhsa_exception_fp_ieee_inexact 0
		.amdhsa_exception_int_div_zero 0
	.end_amdhsa_kernel
	.section	.text._Z6kernelI4downfLj256ELj3ELj100EEvPKT0_PS1_,"axG",@progbits,_Z6kernelI4downfLj256ELj3ELj100EEvPKT0_PS1_,comdat
.Lfunc_end63:
	.size	_Z6kernelI4downfLj256ELj3ELj100EEvPKT0_PS1_, .Lfunc_end63-_Z6kernelI4downfLj256ELj3ELj100EEvPKT0_PS1_
                                        ; -- End function
	.set _Z6kernelI4downfLj256ELj3ELj100EEvPKT0_PS1_.num_vgpr, 11
	.set _Z6kernelI4downfLj256ELj3ELj100EEvPKT0_PS1_.num_agpr, 0
	.set _Z6kernelI4downfLj256ELj3ELj100EEvPKT0_PS1_.numbered_sgpr, 7
	.set _Z6kernelI4downfLj256ELj3ELj100EEvPKT0_PS1_.num_named_barrier, 0
	.set _Z6kernelI4downfLj256ELj3ELj100EEvPKT0_PS1_.private_seg_size, 0
	.set _Z6kernelI4downfLj256ELj3ELj100EEvPKT0_PS1_.uses_vcc, 1
	.set _Z6kernelI4downfLj256ELj3ELj100EEvPKT0_PS1_.uses_flat_scratch, 0
	.set _Z6kernelI4downfLj256ELj3ELj100EEvPKT0_PS1_.has_dyn_sized_stack, 0
	.set _Z6kernelI4downfLj256ELj3ELj100EEvPKT0_PS1_.has_recursion, 0
	.set _Z6kernelI4downfLj256ELj3ELj100EEvPKT0_PS1_.has_indirect_call, 0
	.section	.AMDGPU.csdata,"",@progbits
; Kernel info:
; codeLenInByte = 324
; TotalNumSgprs: 9
; NumVgprs: 11
; ScratchSize: 0
; MemoryBound: 0
; FloatMode: 240
; IeeeMode: 1
; LDSByteSize: 1024 bytes/workgroup (compile time only)
; SGPRBlocks: 0
; VGPRBlocks: 0
; NumSGPRsForWavesPerEU: 9
; NumVGPRsForWavesPerEU: 11
; NamedBarCnt: 0
; Occupancy: 16
; WaveLimiterHint : 0
; COMPUTE_PGM_RSRC2:SCRATCH_EN: 0
; COMPUTE_PGM_RSRC2:USER_SGPR: 2
; COMPUTE_PGM_RSRC2:TRAP_HANDLER: 0
; COMPUTE_PGM_RSRC2:TGID_X_EN: 1
; COMPUTE_PGM_RSRC2:TGID_Y_EN: 0
; COMPUTE_PGM_RSRC2:TGID_Z_EN: 0
; COMPUTE_PGM_RSRC2:TIDIG_COMP_CNT: 0
	.section	.text._Z6kernelI4downfLj256ELj4ELj100EEvPKT0_PS1_,"axG",@progbits,_Z6kernelI4downfLj256ELj4ELj100EEvPKT0_PS1_,comdat
	.protected	_Z6kernelI4downfLj256ELj4ELj100EEvPKT0_PS1_ ; -- Begin function _Z6kernelI4downfLj256ELj4ELj100EEvPKT0_PS1_
	.globl	_Z6kernelI4downfLj256ELj4ELj100EEvPKT0_PS1_
	.p2align	8
	.type	_Z6kernelI4downfLj256ELj4ELj100EEvPKT0_PS1_,@function
_Z6kernelI4downfLj256ELj4ELj100EEvPKT0_PS1_: ; @_Z6kernelI4downfLj256ELj4ELj100EEvPKT0_PS1_
; %bb.0:
	s_load_b128 s[0:3], s[0:1], 0x0
	s_bfe_u32 s4, ttmp6, 0x4000c
	s_and_b32 s5, ttmp6, 15
	s_add_co_i32 s4, s4, 1
	s_getreg_b32 s6, hwreg(HW_REG_IB_STS2, 6, 4)
	s_mul_i32 s4, ttmp9, s4
	v_dual_lshlrev_b32 v1, 2, v0 :: v_dual_mov_b32 v7, 0
	s_add_co_i32 s5, s5, s4
	s_cmp_eq_u32 s6, 0
	v_cmp_gt_u32_e32 vcc_lo, 0xff, v0
	s_cselect_b32 s4, ttmp9, s5
	s_delay_alu instid0(SALU_CYCLE_1) | instskip(SKIP_1) | instid1(VALU_DEP_1)
	v_lshl_or_b32 v6, s4, 10, v1
	s_wait_kmcnt 0x0
	v_lshl_add_u64 v[2:3], v[6:7], 2, s[0:1]
	s_movk_i32 s0, 0x64
	global_load_b128 v[2:5], v[2:3], off
.LBB64_1:                               ; =>This Inner Loop Header: Depth=1
	s_wait_loadcnt 0x0
	s_delay_alu instid0(VALU_DEP_1)
	v_mov_b32_e32 v9, v5
	ds_store_b32 v1, v2
	s_wait_dscnt 0x0
	s_barrier_signal -1
	s_barrier_wait -1
	s_and_saveexec_b32 s1, vcc_lo
; %bb.2:                                ;   in Loop: Header=BB64_1 Depth=1
	ds_load_b32 v9, v1 offset:4
; %bb.3:                                ;   in Loop: Header=BB64_1 Depth=1
	s_or_b32 exec_lo, exec_lo, s1
	s_add_co_i32 s0, s0, -1
	s_wait_dscnt 0x0
	s_cmp_lg_u32 s0, 0
	s_barrier_signal -1
	s_barrier_wait -1
	s_cbranch_scc0 .LBB64_5
; %bb.4:                                ;   in Loop: Header=BB64_1 Depth=1
	v_dual_mov_b32 v2, v3 :: v_dual_mov_b32 v3, v4
	v_dual_mov_b32 v4, v5 :: v_dual_mov_b32 v5, v9
	s_branch .LBB64_1
.LBB64_5:
	v_lshl_add_u64 v[0:1], v[6:7], 2, s[2:3]
	v_dual_mov_b32 v6, v3 :: v_dual_mov_b32 v7, v4
	v_mov_b32_e32 v8, v5
	global_store_b128 v[0:1], v[6:9], off
	s_endpgm
	.section	.rodata,"a",@progbits
	.p2align	6, 0x0
	.amdhsa_kernel _Z6kernelI4downfLj256ELj4ELj100EEvPKT0_PS1_
		.amdhsa_group_segment_fixed_size 1024
		.amdhsa_private_segment_fixed_size 0
		.amdhsa_kernarg_size 16
		.amdhsa_user_sgpr_count 2
		.amdhsa_user_sgpr_dispatch_ptr 0
		.amdhsa_user_sgpr_queue_ptr 0
		.amdhsa_user_sgpr_kernarg_segment_ptr 1
		.amdhsa_user_sgpr_dispatch_id 0
		.amdhsa_user_sgpr_kernarg_preload_length 0
		.amdhsa_user_sgpr_kernarg_preload_offset 0
		.amdhsa_user_sgpr_private_segment_size 0
		.amdhsa_wavefront_size32 1
		.amdhsa_uses_dynamic_stack 0
		.amdhsa_enable_private_segment 0
		.amdhsa_system_sgpr_workgroup_id_x 1
		.amdhsa_system_sgpr_workgroup_id_y 0
		.amdhsa_system_sgpr_workgroup_id_z 0
		.amdhsa_system_sgpr_workgroup_info 0
		.amdhsa_system_vgpr_workitem_id 0
		.amdhsa_next_free_vgpr 10
		.amdhsa_next_free_sgpr 7
		.amdhsa_named_barrier_count 0
		.amdhsa_reserve_vcc 1
		.amdhsa_float_round_mode_32 0
		.amdhsa_float_round_mode_16_64 0
		.amdhsa_float_denorm_mode_32 3
		.amdhsa_float_denorm_mode_16_64 3
		.amdhsa_fp16_overflow 0
		.amdhsa_memory_ordered 1
		.amdhsa_forward_progress 1
		.amdhsa_inst_pref_size 2
		.amdhsa_round_robin_scheduling 0
		.amdhsa_exception_fp_ieee_invalid_op 0
		.amdhsa_exception_fp_denorm_src 0
		.amdhsa_exception_fp_ieee_div_zero 0
		.amdhsa_exception_fp_ieee_overflow 0
		.amdhsa_exception_fp_ieee_underflow 0
		.amdhsa_exception_fp_ieee_inexact 0
		.amdhsa_exception_int_div_zero 0
	.end_amdhsa_kernel
	.section	.text._Z6kernelI4downfLj256ELj4ELj100EEvPKT0_PS1_,"axG",@progbits,_Z6kernelI4downfLj256ELj4ELj100EEvPKT0_PS1_,comdat
.Lfunc_end64:
	.size	_Z6kernelI4downfLj256ELj4ELj100EEvPKT0_PS1_, .Lfunc_end64-_Z6kernelI4downfLj256ELj4ELj100EEvPKT0_PS1_
                                        ; -- End function
	.set _Z6kernelI4downfLj256ELj4ELj100EEvPKT0_PS1_.num_vgpr, 10
	.set _Z6kernelI4downfLj256ELj4ELj100EEvPKT0_PS1_.num_agpr, 0
	.set _Z6kernelI4downfLj256ELj4ELj100EEvPKT0_PS1_.numbered_sgpr, 7
	.set _Z6kernelI4downfLj256ELj4ELj100EEvPKT0_PS1_.num_named_barrier, 0
	.set _Z6kernelI4downfLj256ELj4ELj100EEvPKT0_PS1_.private_seg_size, 0
	.set _Z6kernelI4downfLj256ELj4ELj100EEvPKT0_PS1_.uses_vcc, 1
	.set _Z6kernelI4downfLj256ELj4ELj100EEvPKT0_PS1_.uses_flat_scratch, 0
	.set _Z6kernelI4downfLj256ELj4ELj100EEvPKT0_PS1_.has_dyn_sized_stack, 0
	.set _Z6kernelI4downfLj256ELj4ELj100EEvPKT0_PS1_.has_recursion, 0
	.set _Z6kernelI4downfLj256ELj4ELj100EEvPKT0_PS1_.has_indirect_call, 0
	.section	.AMDGPU.csdata,"",@progbits
; Kernel info:
; codeLenInByte = 232
; TotalNumSgprs: 9
; NumVgprs: 10
; ScratchSize: 0
; MemoryBound: 0
; FloatMode: 240
; IeeeMode: 1
; LDSByteSize: 1024 bytes/workgroup (compile time only)
; SGPRBlocks: 0
; VGPRBlocks: 0
; NumSGPRsForWavesPerEU: 9
; NumVGPRsForWavesPerEU: 10
; NamedBarCnt: 0
; Occupancy: 16
; WaveLimiterHint : 0
; COMPUTE_PGM_RSRC2:SCRATCH_EN: 0
; COMPUTE_PGM_RSRC2:USER_SGPR: 2
; COMPUTE_PGM_RSRC2:TRAP_HANDLER: 0
; COMPUTE_PGM_RSRC2:TGID_X_EN: 1
; COMPUTE_PGM_RSRC2:TGID_Y_EN: 0
; COMPUTE_PGM_RSRC2:TGID_Z_EN: 0
; COMPUTE_PGM_RSRC2:TIDIG_COMP_CNT: 0
	.section	.text._Z6kernelI4downfLj256ELj8ELj100EEvPKT0_PS1_,"axG",@progbits,_Z6kernelI4downfLj256ELj8ELj100EEvPKT0_PS1_,comdat
	.protected	_Z6kernelI4downfLj256ELj8ELj100EEvPKT0_PS1_ ; -- Begin function _Z6kernelI4downfLj256ELj8ELj100EEvPKT0_PS1_
	.globl	_Z6kernelI4downfLj256ELj8ELj100EEvPKT0_PS1_
	.p2align	8
	.type	_Z6kernelI4downfLj256ELj8ELj100EEvPKT0_PS1_,@function
_Z6kernelI4downfLj256ELj8ELj100EEvPKT0_PS1_: ; @_Z6kernelI4downfLj256ELj8ELj100EEvPKT0_PS1_
; %bb.0:
	s_load_b128 s[0:3], s[0:1], 0x0
	s_bfe_u32 s4, ttmp6, 0x4000c
	s_and_b32 s5, ttmp6, 15
	s_add_co_i32 s4, s4, 1
	s_getreg_b32 s6, hwreg(HW_REG_IB_STS2, 6, 4)
	s_mul_i32 s4, ttmp9, s4
	v_dual_lshlrev_b32 v1, 3, v0 :: v_dual_mov_b32 v11, 0
	s_add_co_i32 s5, s5, s4
	s_cmp_eq_u32 s6, 0
	v_cmp_gt_u32_e32 vcc_lo, 0xff, v0
	s_cselect_b32 s4, ttmp9, s5
	s_delay_alu instid0(SALU_CYCLE_1) | instskip(SKIP_2) | instid1(VALU_DEP_2)
	v_lshl_or_b32 v10, s4, 11, v1
	v_lshlrev_b32_e32 v1, 2, v0
	s_wait_kmcnt 0x0
	v_lshl_add_u64 v[12:13], v[10:11], 2, s[0:1]
	s_movk_i32 s0, 0x64
	s_clause 0x1
	global_load_b128 v[2:5], v[12:13], off
	global_load_b128 v[6:9], v[12:13], off offset:16
.LBB65_1:                               ; =>This Inner Loop Header: Depth=1
	s_wait_loadcnt 0x0
	s_delay_alu instid0(VALU_DEP_1)
	v_mov_b32_e32 v13, v9
	ds_store_b32 v1, v2
	s_wait_dscnt 0x0
	s_barrier_signal -1
	s_barrier_wait -1
	s_and_saveexec_b32 s1, vcc_lo
; %bb.2:                                ;   in Loop: Header=BB65_1 Depth=1
	ds_load_b32 v13, v1 offset:4
; %bb.3:                                ;   in Loop: Header=BB65_1 Depth=1
	s_or_b32 exec_lo, exec_lo, s1
	s_add_co_i32 s0, s0, -1
	s_wait_dscnt 0x0
	s_cmp_lg_u32 s0, 0
	s_barrier_signal -1
	s_barrier_wait -1
	s_cbranch_scc0 .LBB65_5
; %bb.4:                                ;   in Loop: Header=BB65_1 Depth=1
	v_dual_mov_b32 v2, v3 :: v_dual_mov_b32 v3, v4
	v_dual_mov_b32 v4, v5 :: v_dual_mov_b32 v5, v6
	;; [unrolled: 1-line block ×4, first 2 shown]
	s_branch .LBB65_1
.LBB65_5:
	v_lshl_add_u64 v[14:15], v[10:11], 2, s[2:3]
	v_dual_mov_b32 v0, v3 :: v_dual_mov_b32 v1, v4
	v_dual_mov_b32 v2, v5 :: v_dual_mov_b32 v3, v6
	;; [unrolled: 1-line block ×3, first 2 shown]
	v_mov_b32_e32 v12, v9
	s_clause 0x1
	global_store_b128 v[14:15], v[0:3], off
	global_store_b128 v[14:15], v[10:13], off offset:16
	s_endpgm
	.section	.rodata,"a",@progbits
	.p2align	6, 0x0
	.amdhsa_kernel _Z6kernelI4downfLj256ELj8ELj100EEvPKT0_PS1_
		.amdhsa_group_segment_fixed_size 1024
		.amdhsa_private_segment_fixed_size 0
		.amdhsa_kernarg_size 16
		.amdhsa_user_sgpr_count 2
		.amdhsa_user_sgpr_dispatch_ptr 0
		.amdhsa_user_sgpr_queue_ptr 0
		.amdhsa_user_sgpr_kernarg_segment_ptr 1
		.amdhsa_user_sgpr_dispatch_id 0
		.amdhsa_user_sgpr_kernarg_preload_length 0
		.amdhsa_user_sgpr_kernarg_preload_offset 0
		.amdhsa_user_sgpr_private_segment_size 0
		.amdhsa_wavefront_size32 1
		.amdhsa_uses_dynamic_stack 0
		.amdhsa_enable_private_segment 0
		.amdhsa_system_sgpr_workgroup_id_x 1
		.amdhsa_system_sgpr_workgroup_id_y 0
		.amdhsa_system_sgpr_workgroup_id_z 0
		.amdhsa_system_sgpr_workgroup_info 0
		.amdhsa_system_vgpr_workitem_id 0
		.amdhsa_next_free_vgpr 16
		.amdhsa_next_free_sgpr 7
		.amdhsa_named_barrier_count 0
		.amdhsa_reserve_vcc 1
		.amdhsa_float_round_mode_32 0
		.amdhsa_float_round_mode_16_64 0
		.amdhsa_float_denorm_mode_32 3
		.amdhsa_float_denorm_mode_16_64 3
		.amdhsa_fp16_overflow 0
		.amdhsa_memory_ordered 1
		.amdhsa_forward_progress 1
		.amdhsa_inst_pref_size 3
		.amdhsa_round_robin_scheduling 0
		.amdhsa_exception_fp_ieee_invalid_op 0
		.amdhsa_exception_fp_denorm_src 0
		.amdhsa_exception_fp_ieee_div_zero 0
		.amdhsa_exception_fp_ieee_overflow 0
		.amdhsa_exception_fp_ieee_underflow 0
		.amdhsa_exception_fp_ieee_inexact 0
		.amdhsa_exception_int_div_zero 0
	.end_amdhsa_kernel
	.section	.text._Z6kernelI4downfLj256ELj8ELj100EEvPKT0_PS1_,"axG",@progbits,_Z6kernelI4downfLj256ELj8ELj100EEvPKT0_PS1_,comdat
.Lfunc_end65:
	.size	_Z6kernelI4downfLj256ELj8ELj100EEvPKT0_PS1_, .Lfunc_end65-_Z6kernelI4downfLj256ELj8ELj100EEvPKT0_PS1_
                                        ; -- End function
	.set _Z6kernelI4downfLj256ELj8ELj100EEvPKT0_PS1_.num_vgpr, 16
	.set _Z6kernelI4downfLj256ELj8ELj100EEvPKT0_PS1_.num_agpr, 0
	.set _Z6kernelI4downfLj256ELj8ELj100EEvPKT0_PS1_.numbered_sgpr, 7
	.set _Z6kernelI4downfLj256ELj8ELj100EEvPKT0_PS1_.num_named_barrier, 0
	.set _Z6kernelI4downfLj256ELj8ELj100EEvPKT0_PS1_.private_seg_size, 0
	.set _Z6kernelI4downfLj256ELj8ELj100EEvPKT0_PS1_.uses_vcc, 1
	.set _Z6kernelI4downfLj256ELj8ELj100EEvPKT0_PS1_.uses_flat_scratch, 0
	.set _Z6kernelI4downfLj256ELj8ELj100EEvPKT0_PS1_.has_dyn_sized_stack, 0
	.set _Z6kernelI4downfLj256ELj8ELj100EEvPKT0_PS1_.has_recursion, 0
	.set _Z6kernelI4downfLj256ELj8ELj100EEvPKT0_PS1_.has_indirect_call, 0
	.section	.AMDGPU.csdata,"",@progbits
; Kernel info:
; codeLenInByte = 300
; TotalNumSgprs: 9
; NumVgprs: 16
; ScratchSize: 0
; MemoryBound: 0
; FloatMode: 240
; IeeeMode: 1
; LDSByteSize: 1024 bytes/workgroup (compile time only)
; SGPRBlocks: 0
; VGPRBlocks: 0
; NumSGPRsForWavesPerEU: 9
; NumVGPRsForWavesPerEU: 16
; NamedBarCnt: 0
; Occupancy: 16
; WaveLimiterHint : 0
; COMPUTE_PGM_RSRC2:SCRATCH_EN: 0
; COMPUTE_PGM_RSRC2:USER_SGPR: 2
; COMPUTE_PGM_RSRC2:TRAP_HANDLER: 0
; COMPUTE_PGM_RSRC2:TGID_X_EN: 1
; COMPUTE_PGM_RSRC2:TGID_Y_EN: 0
; COMPUTE_PGM_RSRC2:TGID_Z_EN: 0
; COMPUTE_PGM_RSRC2:TIDIG_COMP_CNT: 0
	.section	.text._Z6kernelI4downfLj256ELj16ELj100EEvPKT0_PS1_,"axG",@progbits,_Z6kernelI4downfLj256ELj16ELj100EEvPKT0_PS1_,comdat
	.protected	_Z6kernelI4downfLj256ELj16ELj100EEvPKT0_PS1_ ; -- Begin function _Z6kernelI4downfLj256ELj16ELj100EEvPKT0_PS1_
	.globl	_Z6kernelI4downfLj256ELj16ELj100EEvPKT0_PS1_
	.p2align	8
	.type	_Z6kernelI4downfLj256ELj16ELj100EEvPKT0_PS1_,@function
_Z6kernelI4downfLj256ELj16ELj100EEvPKT0_PS1_: ; @_Z6kernelI4downfLj256ELj16ELj100EEvPKT0_PS1_
; %bb.0:
	s_load_b128 s[0:3], s[0:1], 0x0
	s_bfe_u32 s4, ttmp6, 0x4000c
	s_and_b32 s5, ttmp6, 15
	s_add_co_i32 s4, s4, 1
	s_getreg_b32 s6, hwreg(HW_REG_IB_STS2, 6, 4)
	s_mul_i32 s4, ttmp9, s4
	v_dual_lshlrev_b32 v1, 4, v0 :: v_dual_mov_b32 v25, 0
	s_add_co_i32 s5, s5, s4
	s_cmp_eq_u32 s6, 0
	v_cmp_gt_u32_e32 vcc_lo, 0xff, v0
	s_cselect_b32 s4, ttmp9, s5
	s_delay_alu instid0(SALU_CYCLE_1) | instskip(SKIP_1) | instid1(VALU_DEP_1)
	v_lshl_or_b32 v24, s4, 12, v1
	s_wait_kmcnt 0x0
	v_lshl_add_u64 v[2:3], v[24:25], 2, s[0:1]
	s_clause 0xb
	global_load_b32 v1, v24, s[0:1] offset:56 scale_offset
	global_load_b96 v[20:22], v[2:3], off
	global_load_b64 v[34:35], v[2:3], off offset:8
	global_load_b128 v[16:19], v[2:3], off offset:40
	global_load_b64 v[6:7], v[2:3], off offset:12
	global_load_b64 v[28:29], v[2:3], off offset:16
	;; [unrolled: 1-line block ×8, first 2 shown]
	v_lshlrev_b32_e32 v23, 2, v0
	s_wait_xcnt 0xb
	s_movk_i32 s0, 0x64
	s_wait_loadcnt 0xa
	v_dual_mov_b32 v4, v21 :: v_dual_mov_b32 v5, v22
	s_wait_loadcnt 0x8
	v_dual_mov_b32 v0, v19 :: v_dual_mov_b32 v14, v17
	v_mov_b32_e32 v15, v18
.LBB66_1:                               ; =>This Inner Loop Header: Depth=1
	s_wait_loadcnt 0x0
	s_delay_alu instid0(VALU_DEP_1)
	v_mov_b32_e32 v3, v33
	ds_store_b32 v23, v20
	s_wait_dscnt 0x0
	s_barrier_signal -1
	s_barrier_wait -1
	s_and_saveexec_b32 s1, vcc_lo
; %bb.2:                                ;   in Loop: Header=BB66_1 Depth=1
	ds_load_b32 v3, v23 offset:4
; %bb.3:                                ;   in Loop: Header=BB66_1 Depth=1
	s_or_b32 exec_lo, exec_lo, s1
	s_add_co_i32 s0, s0, -1
	s_wait_dscnt 0x0
	s_cmp_lg_u32 s0, 0
	s_barrier_signal -1
	s_barrier_wait -1
	s_cbranch_scc0 .LBB66_5
; %bb.4:                                ;   in Loop: Header=BB66_1 Depth=1
	v_dual_mov_b32 v18, v15 :: v_dual_mov_b32 v19, v0
	v_dual_mov_b32 v2, v33 :: v_dual_mov_b32 v20, v4
	v_mov_b64_e32 v[4:5], v[34:35]
	v_mov_b64_e32 v[34:35], v[6:7]
	;; [unrolled: 1-line block ×13, first 2 shown]
	s_branch .LBB66_1
.LBB66_5:
	v_lshl_add_u64 v[18:19], v[24:25], 2, s[2:3]
	v_dual_mov_b32 v6, v35 :: v_dual_mov_b32 v8, v29
	v_dual_mov_b32 v10, v31 :: v_dual_mov_b32 v12, v27
	;; [unrolled: 1-line block ×3, first 2 shown]
	s_clause 0x3
	global_store_b128 v[18:19], v[4:7], off
	global_store_b128 v[18:19], v[8:11], off offset:16
	global_store_b128 v[18:19], v[12:15], off offset:32
	;; [unrolled: 1-line block ×3, first 2 shown]
	s_endpgm
	.section	.rodata,"a",@progbits
	.p2align	6, 0x0
	.amdhsa_kernel _Z6kernelI4downfLj256ELj16ELj100EEvPKT0_PS1_
		.amdhsa_group_segment_fixed_size 1024
		.amdhsa_private_segment_fixed_size 0
		.amdhsa_kernarg_size 16
		.amdhsa_user_sgpr_count 2
		.amdhsa_user_sgpr_dispatch_ptr 0
		.amdhsa_user_sgpr_queue_ptr 0
		.amdhsa_user_sgpr_kernarg_segment_ptr 1
		.amdhsa_user_sgpr_dispatch_id 0
		.amdhsa_user_sgpr_kernarg_preload_length 0
		.amdhsa_user_sgpr_kernarg_preload_offset 0
		.amdhsa_user_sgpr_private_segment_size 0
		.amdhsa_wavefront_size32 1
		.amdhsa_uses_dynamic_stack 0
		.amdhsa_enable_private_segment 0
		.amdhsa_system_sgpr_workgroup_id_x 1
		.amdhsa_system_sgpr_workgroup_id_y 0
		.amdhsa_system_sgpr_workgroup_id_z 0
		.amdhsa_system_sgpr_workgroup_info 0
		.amdhsa_system_vgpr_workitem_id 0
		.amdhsa_next_free_vgpr 36
		.amdhsa_next_free_sgpr 7
		.amdhsa_named_barrier_count 0
		.amdhsa_reserve_vcc 1
		.amdhsa_float_round_mode_32 0
		.amdhsa_float_round_mode_16_64 0
		.amdhsa_float_denorm_mode_32 3
		.amdhsa_float_denorm_mode_16_64 3
		.amdhsa_fp16_overflow 0
		.amdhsa_memory_ordered 1
		.amdhsa_forward_progress 1
		.amdhsa_inst_pref_size 5
		.amdhsa_round_robin_scheduling 0
		.amdhsa_exception_fp_ieee_invalid_op 0
		.amdhsa_exception_fp_denorm_src 0
		.amdhsa_exception_fp_ieee_div_zero 0
		.amdhsa_exception_fp_ieee_overflow 0
		.amdhsa_exception_fp_ieee_underflow 0
		.amdhsa_exception_fp_ieee_inexact 0
		.amdhsa_exception_int_div_zero 0
	.end_amdhsa_kernel
	.section	.text._Z6kernelI4downfLj256ELj16ELj100EEvPKT0_PS1_,"axG",@progbits,_Z6kernelI4downfLj256ELj16ELj100EEvPKT0_PS1_,comdat
.Lfunc_end66:
	.size	_Z6kernelI4downfLj256ELj16ELj100EEvPKT0_PS1_, .Lfunc_end66-_Z6kernelI4downfLj256ELj16ELj100EEvPKT0_PS1_
                                        ; -- End function
	.set _Z6kernelI4downfLj256ELj16ELj100EEvPKT0_PS1_.num_vgpr, 36
	.set _Z6kernelI4downfLj256ELj16ELj100EEvPKT0_PS1_.num_agpr, 0
	.set _Z6kernelI4downfLj256ELj16ELj100EEvPKT0_PS1_.numbered_sgpr, 7
	.set _Z6kernelI4downfLj256ELj16ELj100EEvPKT0_PS1_.num_named_barrier, 0
	.set _Z6kernelI4downfLj256ELj16ELj100EEvPKT0_PS1_.private_seg_size, 0
	.set _Z6kernelI4downfLj256ELj16ELj100EEvPKT0_PS1_.uses_vcc, 1
	.set _Z6kernelI4downfLj256ELj16ELj100EEvPKT0_PS1_.uses_flat_scratch, 0
	.set _Z6kernelI4downfLj256ELj16ELj100EEvPKT0_PS1_.has_dyn_sized_stack, 0
	.set _Z6kernelI4downfLj256ELj16ELj100EEvPKT0_PS1_.has_recursion, 0
	.set _Z6kernelI4downfLj256ELj16ELj100EEvPKT0_PS1_.has_indirect_call, 0
	.section	.AMDGPU.csdata,"",@progbits
; Kernel info:
; codeLenInByte = 528
; TotalNumSgprs: 9
; NumVgprs: 36
; ScratchSize: 0
; MemoryBound: 0
; FloatMode: 240
; IeeeMode: 1
; LDSByteSize: 1024 bytes/workgroup (compile time only)
; SGPRBlocks: 0
; VGPRBlocks: 2
; NumSGPRsForWavesPerEU: 9
; NumVGPRsForWavesPerEU: 36
; NamedBarCnt: 0
; Occupancy: 16
; WaveLimiterHint : 0
; COMPUTE_PGM_RSRC2:SCRATCH_EN: 0
; COMPUTE_PGM_RSRC2:USER_SGPR: 2
; COMPUTE_PGM_RSRC2:TRAP_HANDLER: 0
; COMPUTE_PGM_RSRC2:TGID_X_EN: 1
; COMPUTE_PGM_RSRC2:TGID_Y_EN: 0
; COMPUTE_PGM_RSRC2:TGID_Z_EN: 0
; COMPUTE_PGM_RSRC2:TIDIG_COMP_CNT: 0
	.section	.text._Z6kernelI4downfLj256ELj32ELj100EEvPKT0_PS1_,"axG",@progbits,_Z6kernelI4downfLj256ELj32ELj100EEvPKT0_PS1_,comdat
	.protected	_Z6kernelI4downfLj256ELj32ELj100EEvPKT0_PS1_ ; -- Begin function _Z6kernelI4downfLj256ELj32ELj100EEvPKT0_PS1_
	.globl	_Z6kernelI4downfLj256ELj32ELj100EEvPKT0_PS1_
	.p2align	8
	.type	_Z6kernelI4downfLj256ELj32ELj100EEvPKT0_PS1_,@function
_Z6kernelI4downfLj256ELj32ELj100EEvPKT0_PS1_: ; @_Z6kernelI4downfLj256ELj32ELj100EEvPKT0_PS1_
; %bb.0:
	s_load_b128 s[0:3], s[0:1], 0x0
	s_bfe_u32 s4, ttmp6, 0x4000c
	s_and_b32 s5, ttmp6, 15
	s_add_co_i32 s4, s4, 1
	s_getreg_b32 s6, hwreg(HW_REG_IB_STS2, 6, 4)
	s_mul_i32 s4, ttmp9, s4
	v_dual_lshlrev_b32 v1, 5, v0 :: v_dual_mov_b32 v45, 0
	s_add_co_i32 s5, s5, s4
	s_cmp_eq_u32 s6, 0
	v_cmp_gt_u32_e32 vcc_lo, 0xff, v0
	s_cselect_b32 s4, ttmp9, s5
	s_delay_alu instid0(SALU_CYCLE_1) | instskip(SKIP_1) | instid1(VALU_DEP_1)
	v_lshl_or_b32 v44, s4, 13, v1
	s_wait_kmcnt 0x0
	v_lshl_add_u64 v[10:11], v[44:45], 2, s[0:1]
	s_clause 0x19
	global_load_b32 v5, v44, s[0:1] offset:56 scale_offset
	global_load_b32 v1, v44, s[0:1] offset:104 scale_offset
	global_load_b96 v[40:42], v[10:11], off
	global_load_b64 v[62:63], v[10:11], off offset:8
	global_load_b64 v[34:35], v[10:11], off offset:12
	;; [unrolled: 1-line block ×8, first 2 shown]
	global_load_b128 v[36:39], v[10:11], off offset:40
	global_load_b64 v[54:55], v[10:11], off offset:56
	global_load_b64 v[14:15], v[10:11], off offset:76
	;; [unrolled: 1-line block ×3, first 2 shown]
	; meta instruction
	global_load_b64 v[16:17], v[10:11], off offset:84
	global_load_b128 v[24:27], v[10:11], off offset:88
	global_load_b64 v[46:47], v[10:11], off offset:104
	global_load_b64 v[6:7], v[10:11], off offset:60
	;; [unrolled: 1-line block ×9, first 2 shown]
	v_lshlrev_b32_e32 v43, 2, v0
	s_wait_xcnt 0x18
	s_movk_i32 s0, 0x64
	s_wait_loadcnt 0x17
	v_dual_mov_b32 v32, v41 :: v_dual_mov_b32 v33, v42
	s_wait_loadcnt 0xe
	s_wait_xcnt 0x0
	v_dual_mov_b32 v4, v39 :: v_dual_mov_b32 v11, v38
	s_wait_loadcnt 0x9
	v_dual_mov_b32 v10, v37 :: v_dual_mov_b32 v0, v27
	v_dual_mov_b32 v18, v25 :: v_dual_mov_b32 v19, v26
.LBB67_1:                               ; =>This Inner Loop Header: Depth=1
	s_wait_loadcnt 0x1
	s_delay_alu instid0(VALU_DEP_1)
	v_mov_b32_e32 v23, v51
	ds_store_b32 v43, v40
	s_wait_loadcnt_dscnt 0x0
	s_barrier_signal -1
	s_barrier_wait -1
	s_and_saveexec_b32 s1, vcc_lo
; %bb.2:                                ;   in Loop: Header=BB67_1 Depth=1
	ds_load_b32 v23, v43 offset:4
; %bb.3:                                ;   in Loop: Header=BB67_1 Depth=1
	s_or_b32 exec_lo, exec_lo, s1
	s_add_co_i32 s0, s0, -1
	s_wait_dscnt 0x0
	s_cmp_lg_u32 s0, 0
	s_barrier_signal -1
	s_barrier_wait -1
	s_cbranch_scc0 .LBB67_5
; %bb.4:                                ;   in Loop: Header=BB67_1 Depth=1
	v_dual_mov_b32 v38, v11 :: v_dual_mov_b32 v39, v4
	v_dual_mov_b32 v26, v19 :: v_dual_mov_b32 v27, v0
	;; [unrolled: 1-line block ×3, first 2 shown]
	v_mov_b64_e32 v[32:33], v[62:63]
	v_mov_b64_e32 v[62:63], v[34:35]
	;; [unrolled: 1-line block ×28, first 2 shown]
	s_branch .LBB67_1
.LBB67_5:
	v_lshl_add_u64 v[26:27], v[44:45], 2, s[2:3]
	v_dual_mov_b32 v34, v63 :: v_dual_mov_b32 v28, v59
	v_dual_mov_b32 v30, v61 :: v_dual_mov_b32 v8, v57
	;; [unrolled: 1-line block ×6, first 2 shown]
	s_clause 0x1
	global_store_b128 v[26:27], v[32:35], off
	global_store_b128 v[26:27], v[28:31], off offset:16
	v_mov_b32_e32 v22, v51
	s_clause 0x5
	global_store_b128 v[26:27], v[8:11], off offset:32
	global_store_b128 v[26:27], v[4:7], off offset:48
	;; [unrolled: 1-line block ×6, first 2 shown]
	s_sendmsg sendmsg(MSG_DEALLOC_VGPRS)
	s_endpgm
	.section	.rodata,"a",@progbits
	.p2align	6, 0x0
	.amdhsa_kernel _Z6kernelI4downfLj256ELj32ELj100EEvPKT0_PS1_
		.amdhsa_group_segment_fixed_size 1024
		.amdhsa_private_segment_fixed_size 0
		.amdhsa_kernarg_size 16
		.amdhsa_user_sgpr_count 2
		.amdhsa_user_sgpr_dispatch_ptr 0
		.amdhsa_user_sgpr_queue_ptr 0
		.amdhsa_user_sgpr_kernarg_segment_ptr 1
		.amdhsa_user_sgpr_dispatch_id 0
		.amdhsa_user_sgpr_kernarg_preload_length 0
		.amdhsa_user_sgpr_kernarg_preload_offset 0
		.amdhsa_user_sgpr_private_segment_size 0
		.amdhsa_wavefront_size32 1
		.amdhsa_uses_dynamic_stack 0
		.amdhsa_enable_private_segment 0
		.amdhsa_system_sgpr_workgroup_id_x 1
		.amdhsa_system_sgpr_workgroup_id_y 0
		.amdhsa_system_sgpr_workgroup_id_z 0
		.amdhsa_system_sgpr_workgroup_info 0
		.amdhsa_system_vgpr_workitem_id 0
		.amdhsa_next_free_vgpr 68
		.amdhsa_next_free_sgpr 7
		.amdhsa_named_barrier_count 0
		.amdhsa_reserve_vcc 1
		.amdhsa_float_round_mode_32 0
		.amdhsa_float_round_mode_16_64 0
		.amdhsa_float_denorm_mode_32 3
		.amdhsa_float_denorm_mode_16_64 3
		.amdhsa_fp16_overflow 0
		.amdhsa_memory_ordered 1
		.amdhsa_forward_progress 1
		.amdhsa_inst_pref_size 7
		.amdhsa_round_robin_scheduling 0
		.amdhsa_exception_fp_ieee_invalid_op 0
		.amdhsa_exception_fp_denorm_src 0
		.amdhsa_exception_fp_ieee_div_zero 0
		.amdhsa_exception_fp_ieee_overflow 0
		.amdhsa_exception_fp_ieee_underflow 0
		.amdhsa_exception_fp_ieee_inexact 0
		.amdhsa_exception_int_div_zero 0
	.end_amdhsa_kernel
	.section	.text._Z6kernelI4downfLj256ELj32ELj100EEvPKT0_PS1_,"axG",@progbits,_Z6kernelI4downfLj256ELj32ELj100EEvPKT0_PS1_,comdat
.Lfunc_end67:
	.size	_Z6kernelI4downfLj256ELj32ELj100EEvPKT0_PS1_, .Lfunc_end67-_Z6kernelI4downfLj256ELj32ELj100EEvPKT0_PS1_
                                        ; -- End function
	.set _Z6kernelI4downfLj256ELj32ELj100EEvPKT0_PS1_.num_vgpr, 68
	.set _Z6kernelI4downfLj256ELj32ELj100EEvPKT0_PS1_.num_agpr, 0
	.set _Z6kernelI4downfLj256ELj32ELj100EEvPKT0_PS1_.numbered_sgpr, 7
	.set _Z6kernelI4downfLj256ELj32ELj100EEvPKT0_PS1_.num_named_barrier, 0
	.set _Z6kernelI4downfLj256ELj32ELj100EEvPKT0_PS1_.private_seg_size, 0
	.set _Z6kernelI4downfLj256ELj32ELj100EEvPKT0_PS1_.uses_vcc, 1
	.set _Z6kernelI4downfLj256ELj32ELj100EEvPKT0_PS1_.uses_flat_scratch, 0
	.set _Z6kernelI4downfLj256ELj32ELj100EEvPKT0_PS1_.has_dyn_sized_stack, 0
	.set _Z6kernelI4downfLj256ELj32ELj100EEvPKT0_PS1_.has_recursion, 0
	.set _Z6kernelI4downfLj256ELj32ELj100EEvPKT0_PS1_.has_indirect_call, 0
	.section	.AMDGPU.csdata,"",@progbits
; Kernel info:
; codeLenInByte = 880
; TotalNumSgprs: 9
; NumVgprs: 68
; ScratchSize: 0
; MemoryBound: 0
; FloatMode: 240
; IeeeMode: 1
; LDSByteSize: 1024 bytes/workgroup (compile time only)
; SGPRBlocks: 0
; VGPRBlocks: 4
; NumSGPRsForWavesPerEU: 9
; NumVGPRsForWavesPerEU: 68
; NamedBarCnt: 0
; Occupancy: 12
; WaveLimiterHint : 0
; COMPUTE_PGM_RSRC2:SCRATCH_EN: 0
; COMPUTE_PGM_RSRC2:USER_SGPR: 2
; COMPUTE_PGM_RSRC2:TRAP_HANDLER: 0
; COMPUTE_PGM_RSRC2:TGID_X_EN: 1
; COMPUTE_PGM_RSRC2:TGID_Y_EN: 0
; COMPUTE_PGM_RSRC2:TGID_Z_EN: 0
; COMPUTE_PGM_RSRC2:TIDIG_COMP_CNT: 0
	.section	.text._Z6kernelI4downdLj256ELj1ELj100EEvPKT0_PS1_,"axG",@progbits,_Z6kernelI4downdLj256ELj1ELj100EEvPKT0_PS1_,comdat
	.protected	_Z6kernelI4downdLj256ELj1ELj100EEvPKT0_PS1_ ; -- Begin function _Z6kernelI4downdLj256ELj1ELj100EEvPKT0_PS1_
	.globl	_Z6kernelI4downdLj256ELj1ELj100EEvPKT0_PS1_
	.p2align	8
	.type	_Z6kernelI4downdLj256ELj1ELj100EEvPKT0_PS1_,@function
_Z6kernelI4downdLj256ELj1ELj100EEvPKT0_PS1_: ; @_Z6kernelI4downdLj256ELj1ELj100EEvPKT0_PS1_
; %bb.0:
	s_load_b128 s[0:3], s[0:1], 0x0
	s_bfe_u32 s4, ttmp6, 0x4000c
	s_and_b32 s5, ttmp6, 15
	s_add_co_i32 s4, s4, 1
	s_getreg_b32 s6, hwreg(HW_REG_IB_STS2, 6, 4)
	s_mul_i32 s4, ttmp9, s4
	v_dual_mov_b32 v3, 0 :: v_dual_lshlrev_b32 v1, 3, v0
	s_add_co_i32 s5, s5, s4
	s_cmp_eq_u32 s6, 0
	v_cmp_gt_u32_e32 vcc_lo, 0xff, v0
	s_cselect_b32 s4, ttmp9, s5
	s_delay_alu instid0(SALU_CYCLE_1)
	v_lshl_or_b32 v2, s4, 8, v0
	s_wait_kmcnt 0x0
	global_load_b64 v[4:5], v2, s[0:1] scale_offset
	s_wait_xcnt 0x0
	s_movk_i32 s0, 0x64
	s_branch .LBB68_2
.LBB68_1:                               ;   in Loop: Header=BB68_2 Depth=1
	s_or_b32 exec_lo, exec_lo, s1
	s_add_co_i32 s0, s0, -1
	s_wait_dscnt 0x0
	s_cmp_lg_u32 s0, 0
	s_barrier_signal -1
	s_barrier_wait -1
	s_cbranch_scc0 .LBB68_4
.LBB68_2:                               ; =>This Inner Loop Header: Depth=1
	s_wait_loadcnt 0x0
	ds_store_b64 v1, v[4:5]
	s_wait_dscnt 0x0
	s_barrier_signal -1
	s_barrier_wait -1
	s_and_saveexec_b32 s1, vcc_lo
	s_cbranch_execz .LBB68_1
; %bb.3:                                ;   in Loop: Header=BB68_2 Depth=1
	ds_load_b64 v[4:5], v1 offset:8
	s_branch .LBB68_1
.LBB68_4:
	v_lshl_add_u64 v[0:1], v[2:3], 3, s[2:3]
	global_store_b64 v[0:1], v[4:5], off
	s_endpgm
	.section	.rodata,"a",@progbits
	.p2align	6, 0x0
	.amdhsa_kernel _Z6kernelI4downdLj256ELj1ELj100EEvPKT0_PS1_
		.amdhsa_group_segment_fixed_size 2048
		.amdhsa_private_segment_fixed_size 0
		.amdhsa_kernarg_size 16
		.amdhsa_user_sgpr_count 2
		.amdhsa_user_sgpr_dispatch_ptr 0
		.amdhsa_user_sgpr_queue_ptr 0
		.amdhsa_user_sgpr_kernarg_segment_ptr 1
		.amdhsa_user_sgpr_dispatch_id 0
		.amdhsa_user_sgpr_kernarg_preload_length 0
		.amdhsa_user_sgpr_kernarg_preload_offset 0
		.amdhsa_user_sgpr_private_segment_size 0
		.amdhsa_wavefront_size32 1
		.amdhsa_uses_dynamic_stack 0
		.amdhsa_enable_private_segment 0
		.amdhsa_system_sgpr_workgroup_id_x 1
		.amdhsa_system_sgpr_workgroup_id_y 0
		.amdhsa_system_sgpr_workgroup_id_z 0
		.amdhsa_system_sgpr_workgroup_info 0
		.amdhsa_system_vgpr_workitem_id 0
		.amdhsa_next_free_vgpr 6
		.amdhsa_next_free_sgpr 7
		.amdhsa_named_barrier_count 0
		.amdhsa_reserve_vcc 1
		.amdhsa_float_round_mode_32 0
		.amdhsa_float_round_mode_16_64 0
		.amdhsa_float_denorm_mode_32 3
		.amdhsa_float_denorm_mode_16_64 3
		.amdhsa_fp16_overflow 0
		.amdhsa_memory_ordered 1
		.amdhsa_forward_progress 1
		.amdhsa_inst_pref_size 2
		.amdhsa_round_robin_scheduling 0
		.amdhsa_exception_fp_ieee_invalid_op 0
		.amdhsa_exception_fp_denorm_src 0
		.amdhsa_exception_fp_ieee_div_zero 0
		.amdhsa_exception_fp_ieee_overflow 0
		.amdhsa_exception_fp_ieee_underflow 0
		.amdhsa_exception_fp_ieee_inexact 0
		.amdhsa_exception_int_div_zero 0
	.end_amdhsa_kernel
	.section	.text._Z6kernelI4downdLj256ELj1ELj100EEvPKT0_PS1_,"axG",@progbits,_Z6kernelI4downdLj256ELj1ELj100EEvPKT0_PS1_,comdat
.Lfunc_end68:
	.size	_Z6kernelI4downdLj256ELj1ELj100EEvPKT0_PS1_, .Lfunc_end68-_Z6kernelI4downdLj256ELj1ELj100EEvPKT0_PS1_
                                        ; -- End function
	.set _Z6kernelI4downdLj256ELj1ELj100EEvPKT0_PS1_.num_vgpr, 6
	.set _Z6kernelI4downdLj256ELj1ELj100EEvPKT0_PS1_.num_agpr, 0
	.set _Z6kernelI4downdLj256ELj1ELj100EEvPKT0_PS1_.numbered_sgpr, 7
	.set _Z6kernelI4downdLj256ELj1ELj100EEvPKT0_PS1_.num_named_barrier, 0
	.set _Z6kernelI4downdLj256ELj1ELj100EEvPKT0_PS1_.private_seg_size, 0
	.set _Z6kernelI4downdLj256ELj1ELj100EEvPKT0_PS1_.uses_vcc, 1
	.set _Z6kernelI4downdLj256ELj1ELj100EEvPKT0_PS1_.uses_flat_scratch, 0
	.set _Z6kernelI4downdLj256ELj1ELj100EEvPKT0_PS1_.has_dyn_sized_stack, 0
	.set _Z6kernelI4downdLj256ELj1ELj100EEvPKT0_PS1_.has_recursion, 0
	.set _Z6kernelI4downdLj256ELj1ELj100EEvPKT0_PS1_.has_indirect_call, 0
	.section	.AMDGPU.csdata,"",@progbits
; Kernel info:
; codeLenInByte = 200
; TotalNumSgprs: 9
; NumVgprs: 6
; ScratchSize: 0
; MemoryBound: 0
; FloatMode: 240
; IeeeMode: 1
; LDSByteSize: 2048 bytes/workgroup (compile time only)
; SGPRBlocks: 0
; VGPRBlocks: 0
; NumSGPRsForWavesPerEU: 9
; NumVGPRsForWavesPerEU: 6
; NamedBarCnt: 0
; Occupancy: 16
; WaveLimiterHint : 0
; COMPUTE_PGM_RSRC2:SCRATCH_EN: 0
; COMPUTE_PGM_RSRC2:USER_SGPR: 2
; COMPUTE_PGM_RSRC2:TRAP_HANDLER: 0
; COMPUTE_PGM_RSRC2:TGID_X_EN: 1
; COMPUTE_PGM_RSRC2:TGID_Y_EN: 0
; COMPUTE_PGM_RSRC2:TGID_Z_EN: 0
; COMPUTE_PGM_RSRC2:TIDIG_COMP_CNT: 0
	.section	.text._Z6kernelI4downdLj256ELj3ELj100EEvPKT0_PS1_,"axG",@progbits,_Z6kernelI4downdLj256ELj3ELj100EEvPKT0_PS1_,comdat
	.protected	_Z6kernelI4downdLj256ELj3ELj100EEvPKT0_PS1_ ; -- Begin function _Z6kernelI4downdLj256ELj3ELj100EEvPKT0_PS1_
	.globl	_Z6kernelI4downdLj256ELj3ELj100EEvPKT0_PS1_
	.p2align	8
	.type	_Z6kernelI4downdLj256ELj3ELj100EEvPKT0_PS1_,@function
_Z6kernelI4downdLj256ELj3ELj100EEvPKT0_PS1_: ; @_Z6kernelI4downdLj256ELj3ELj100EEvPKT0_PS1_
; %bb.0:
	s_bfe_u32 s4, ttmp6, 0x4000c
	s_and_b32 s5, ttmp6, 15
	s_add_co_i32 s4, s4, 1
	s_getreg_b32 s6, hwreg(HW_REG_IB_STS2, 6, 4)
	s_mul_i32 s4, ttmp9, s4
	s_load_b128 s[0:3], s[0:1], 0x0
	s_add_co_i32 s5, s5, s4
	s_cmp_eq_u32 s6, 0
	v_dual_mov_b32 v3, 0 :: v_dual_lshlrev_b32 v14, 3, v0
	s_cselect_b32 s4, ttmp9, s5
	v_cmp_gt_u32_e32 vcc_lo, 0xff, v0
	v_lshl_or_b32 v1, s4, 8, v0
	s_delay_alu instid0(VALU_DEP_3) | instskip(NEXT) | instid1(VALU_DEP_2)
	v_dual_mov_b32 v7, v3 :: v_dual_mov_b32 v5, v3
	v_lshl_add_u32 v2, v1, 1, v1
	s_delay_alu instid0(VALU_DEP_1)
	v_dual_add_nc_u32 v4, 2, v2 :: v_dual_add_nc_u32 v6, 1, v2
	s_wait_kmcnt 0x0
	s_clause 0x2
	global_load_b64 v[8:9], v4, s[0:1] scale_offset
	global_load_b64 v[12:13], v2, s[0:1] scale_offset
	;; [unrolled: 1-line block ×3, first 2 shown]
	s_wait_xcnt 0x0
	s_movk_i32 s0, 0x64
	s_wait_loadcnt 0x2
	v_mov_b64_e32 v[0:1], v[8:9]
.LBB69_1:                               ; =>This Inner Loop Header: Depth=1
	s_wait_loadcnt 0x1
	ds_store_b64 v14, v[12:13]
	s_wait_loadcnt_dscnt 0x0
	s_barrier_signal -1
	s_barrier_wait -1
	s_and_saveexec_b32 s1, vcc_lo
; %bb.2:                                ;   in Loop: Header=BB69_1 Depth=1
	ds_load_b64 v[0:1], v14 offset:8
; %bb.3:                                ;   in Loop: Header=BB69_1 Depth=1
	s_or_b32 exec_lo, exec_lo, s1
	s_add_co_i32 s0, s0, -1
	s_wait_dscnt 0x0
	s_cmp_lg_u32 s0, 0
	s_barrier_signal -1
	s_barrier_wait -1
	s_cbranch_scc0 .LBB69_5
; %bb.4:                                ;   in Loop: Header=BB69_1 Depth=1
	v_mov_b64_e32 v[12:13], v[10:11]
	v_mov_b64_e32 v[10:11], v[8:9]
	;; [unrolled: 1-line block ×3, first 2 shown]
	s_branch .LBB69_1
.LBB69_5:
	v_lshl_add_u64 v[2:3], v[2:3], 3, s[2:3]
	v_lshl_add_u64 v[6:7], v[6:7], 3, s[2:3]
	;; [unrolled: 1-line block ×3, first 2 shown]
	s_clause 0x2
	global_store_b64 v[2:3], v[10:11], off
	global_store_b64 v[6:7], v[8:9], off
	;; [unrolled: 1-line block ×3, first 2 shown]
	s_endpgm
	.section	.rodata,"a",@progbits
	.p2align	6, 0x0
	.amdhsa_kernel _Z6kernelI4downdLj256ELj3ELj100EEvPKT0_PS1_
		.amdhsa_group_segment_fixed_size 2048
		.amdhsa_private_segment_fixed_size 0
		.amdhsa_kernarg_size 16
		.amdhsa_user_sgpr_count 2
		.amdhsa_user_sgpr_dispatch_ptr 0
		.amdhsa_user_sgpr_queue_ptr 0
		.amdhsa_user_sgpr_kernarg_segment_ptr 1
		.amdhsa_user_sgpr_dispatch_id 0
		.amdhsa_user_sgpr_kernarg_preload_length 0
		.amdhsa_user_sgpr_kernarg_preload_offset 0
		.amdhsa_user_sgpr_private_segment_size 0
		.amdhsa_wavefront_size32 1
		.amdhsa_uses_dynamic_stack 0
		.amdhsa_enable_private_segment 0
		.amdhsa_system_sgpr_workgroup_id_x 1
		.amdhsa_system_sgpr_workgroup_id_y 0
		.amdhsa_system_sgpr_workgroup_id_z 0
		.amdhsa_system_sgpr_workgroup_info 0
		.amdhsa_system_vgpr_workitem_id 0
		.amdhsa_next_free_vgpr 15
		.amdhsa_next_free_sgpr 7
		.amdhsa_named_barrier_count 0
		.amdhsa_reserve_vcc 1
		.amdhsa_float_round_mode_32 0
		.amdhsa_float_round_mode_16_64 0
		.amdhsa_float_denorm_mode_32 3
		.amdhsa_float_denorm_mode_16_64 3
		.amdhsa_fp16_overflow 0
		.amdhsa_memory_ordered 1
		.amdhsa_forward_progress 1
		.amdhsa_inst_pref_size 3
		.amdhsa_round_robin_scheduling 0
		.amdhsa_exception_fp_ieee_invalid_op 0
		.amdhsa_exception_fp_denorm_src 0
		.amdhsa_exception_fp_ieee_div_zero 0
		.amdhsa_exception_fp_ieee_overflow 0
		.amdhsa_exception_fp_ieee_underflow 0
		.amdhsa_exception_fp_ieee_inexact 0
		.amdhsa_exception_int_div_zero 0
	.end_amdhsa_kernel
	.section	.text._Z6kernelI4downdLj256ELj3ELj100EEvPKT0_PS1_,"axG",@progbits,_Z6kernelI4downdLj256ELj3ELj100EEvPKT0_PS1_,comdat
.Lfunc_end69:
	.size	_Z6kernelI4downdLj256ELj3ELj100EEvPKT0_PS1_, .Lfunc_end69-_Z6kernelI4downdLj256ELj3ELj100EEvPKT0_PS1_
                                        ; -- End function
	.set _Z6kernelI4downdLj256ELj3ELj100EEvPKT0_PS1_.num_vgpr, 15
	.set _Z6kernelI4downdLj256ELj3ELj100EEvPKT0_PS1_.num_agpr, 0
	.set _Z6kernelI4downdLj256ELj3ELj100EEvPKT0_PS1_.numbered_sgpr, 7
	.set _Z6kernelI4downdLj256ELj3ELj100EEvPKT0_PS1_.num_named_barrier, 0
	.set _Z6kernelI4downdLj256ELj3ELj100EEvPKT0_PS1_.private_seg_size, 0
	.set _Z6kernelI4downdLj256ELj3ELj100EEvPKT0_PS1_.uses_vcc, 1
	.set _Z6kernelI4downdLj256ELj3ELj100EEvPKT0_PS1_.uses_flat_scratch, 0
	.set _Z6kernelI4downdLj256ELj3ELj100EEvPKT0_PS1_.has_dyn_sized_stack, 0
	.set _Z6kernelI4downdLj256ELj3ELj100EEvPKT0_PS1_.has_recursion, 0
	.set _Z6kernelI4downdLj256ELj3ELj100EEvPKT0_PS1_.has_indirect_call, 0
	.section	.AMDGPU.csdata,"",@progbits
; Kernel info:
; codeLenInByte = 316
; TotalNumSgprs: 9
; NumVgprs: 15
; ScratchSize: 0
; MemoryBound: 0
; FloatMode: 240
; IeeeMode: 1
; LDSByteSize: 2048 bytes/workgroup (compile time only)
; SGPRBlocks: 0
; VGPRBlocks: 0
; NumSGPRsForWavesPerEU: 9
; NumVGPRsForWavesPerEU: 15
; NamedBarCnt: 0
; Occupancy: 16
; WaveLimiterHint : 0
; COMPUTE_PGM_RSRC2:SCRATCH_EN: 0
; COMPUTE_PGM_RSRC2:USER_SGPR: 2
; COMPUTE_PGM_RSRC2:TRAP_HANDLER: 0
; COMPUTE_PGM_RSRC2:TGID_X_EN: 1
; COMPUTE_PGM_RSRC2:TGID_Y_EN: 0
; COMPUTE_PGM_RSRC2:TGID_Z_EN: 0
; COMPUTE_PGM_RSRC2:TIDIG_COMP_CNT: 0
	.section	.text._Z6kernelI4downdLj256ELj4ELj100EEvPKT0_PS1_,"axG",@progbits,_Z6kernelI4downdLj256ELj4ELj100EEvPKT0_PS1_,comdat
	.protected	_Z6kernelI4downdLj256ELj4ELj100EEvPKT0_PS1_ ; -- Begin function _Z6kernelI4downdLj256ELj4ELj100EEvPKT0_PS1_
	.globl	_Z6kernelI4downdLj256ELj4ELj100EEvPKT0_PS1_
	.p2align	8
	.type	_Z6kernelI4downdLj256ELj4ELj100EEvPKT0_PS1_,@function
_Z6kernelI4downdLj256ELj4ELj100EEvPKT0_PS1_: ; @_Z6kernelI4downdLj256ELj4ELj100EEvPKT0_PS1_
; %bb.0:
	s_load_b128 s[0:3], s[0:1], 0x0
	s_bfe_u32 s4, ttmp6, 0x4000c
	s_and_b32 s5, ttmp6, 15
	s_add_co_i32 s4, s4, 1
	s_getreg_b32 s6, hwreg(HW_REG_IB_STS2, 6, 4)
	s_mul_i32 s4, ttmp9, s4
	v_dual_lshlrev_b32 v1, 2, v0 :: v_dual_mov_b32 v13, 0
	s_add_co_i32 s5, s5, s4
	s_cmp_eq_u32 s6, 0
	v_cmp_gt_u32_e32 vcc_lo, 0xff, v0
	s_cselect_b32 s4, ttmp9, s5
	s_delay_alu instid0(SALU_CYCLE_1) | instskip(SKIP_2) | instid1(VALU_DEP_2)
	v_lshl_or_b32 v12, s4, 10, v1
	v_lshlrev_b32_e32 v1, 3, v0
	s_wait_kmcnt 0x0
	v_lshl_add_u64 v[10:11], v[12:13], 3, s[0:1]
	s_movk_i32 s0, 0x64
	s_clause 0x1
	global_load_b128 v[2:5], v[10:11], off offset:16
	global_load_b128 v[6:9], v[10:11], off
.LBB70_1:                               ; =>This Inner Loop Header: Depth=1
	s_wait_loadcnt 0x1
	s_wait_xcnt 0x0
	s_delay_alu instid0(VALU_DEP_1)
	v_mov_b64_e32 v[10:11], v[4:5]
	s_wait_loadcnt 0x0
	ds_store_b64 v1, v[6:7]
	s_wait_dscnt 0x0
	s_barrier_signal -1
	s_barrier_wait -1
	s_and_saveexec_b32 s1, vcc_lo
; %bb.2:                                ;   in Loop: Header=BB70_1 Depth=1
	ds_load_b64 v[10:11], v1 offset:8
; %bb.3:                                ;   in Loop: Header=BB70_1 Depth=1
	s_or_b32 exec_lo, exec_lo, s1
	s_add_co_i32 s0, s0, -1
	s_wait_dscnt 0x0
	s_cmp_lg_u32 s0, 0
	s_barrier_signal -1
	s_barrier_wait -1
	s_cbranch_scc0 .LBB70_5
; %bb.4:                                ;   in Loop: Header=BB70_1 Depth=1
	v_mov_b64_e32 v[6:7], v[8:9]
	v_mov_b64_e32 v[8:9], v[2:3]
	v_mov_b64_e32 v[2:3], v[4:5]
	v_mov_b64_e32 v[4:5], v[10:11]
	s_branch .LBB70_1
.LBB70_5:
	v_lshl_add_u64 v[6:7], v[12:13], 3, s[2:3]
	v_dual_mov_b32 v0, v8 :: v_dual_mov_b32 v1, v9
	v_dual_mov_b32 v8, v4 :: v_dual_mov_b32 v9, v5
	s_clause 0x1
	global_store_b128 v[6:7], v[0:3], off
	global_store_b128 v[6:7], v[8:11], off offset:16
	s_endpgm
	.section	.rodata,"a",@progbits
	.p2align	6, 0x0
	.amdhsa_kernel _Z6kernelI4downdLj256ELj4ELj100EEvPKT0_PS1_
		.amdhsa_group_segment_fixed_size 2048
		.amdhsa_private_segment_fixed_size 0
		.amdhsa_kernarg_size 16
		.amdhsa_user_sgpr_count 2
		.amdhsa_user_sgpr_dispatch_ptr 0
		.amdhsa_user_sgpr_queue_ptr 0
		.amdhsa_user_sgpr_kernarg_segment_ptr 1
		.amdhsa_user_sgpr_dispatch_id 0
		.amdhsa_user_sgpr_kernarg_preload_length 0
		.amdhsa_user_sgpr_kernarg_preload_offset 0
		.amdhsa_user_sgpr_private_segment_size 0
		.amdhsa_wavefront_size32 1
		.amdhsa_uses_dynamic_stack 0
		.amdhsa_enable_private_segment 0
		.amdhsa_system_sgpr_workgroup_id_x 1
		.amdhsa_system_sgpr_workgroup_id_y 0
		.amdhsa_system_sgpr_workgroup_id_z 0
		.amdhsa_system_sgpr_workgroup_info 0
		.amdhsa_system_vgpr_workitem_id 0
		.amdhsa_next_free_vgpr 14
		.amdhsa_next_free_sgpr 7
		.amdhsa_named_barrier_count 0
		.amdhsa_reserve_vcc 1
		.amdhsa_float_round_mode_32 0
		.amdhsa_float_round_mode_16_64 0
		.amdhsa_float_denorm_mode_32 3
		.amdhsa_float_denorm_mode_16_64 3
		.amdhsa_fp16_overflow 0
		.amdhsa_memory_ordered 1
		.amdhsa_forward_progress 1
		.amdhsa_inst_pref_size 3
		.amdhsa_round_robin_scheduling 0
		.amdhsa_exception_fp_ieee_invalid_op 0
		.amdhsa_exception_fp_denorm_src 0
		.amdhsa_exception_fp_ieee_div_zero 0
		.amdhsa_exception_fp_ieee_overflow 0
		.amdhsa_exception_fp_ieee_underflow 0
		.amdhsa_exception_fp_ieee_inexact 0
		.amdhsa_exception_int_div_zero 0
	.end_amdhsa_kernel
	.section	.text._Z6kernelI4downdLj256ELj4ELj100EEvPKT0_PS1_,"axG",@progbits,_Z6kernelI4downdLj256ELj4ELj100EEvPKT0_PS1_,comdat
.Lfunc_end70:
	.size	_Z6kernelI4downdLj256ELj4ELj100EEvPKT0_PS1_, .Lfunc_end70-_Z6kernelI4downdLj256ELj4ELj100EEvPKT0_PS1_
                                        ; -- End function
	.set _Z6kernelI4downdLj256ELj4ELj100EEvPKT0_PS1_.num_vgpr, 14
	.set _Z6kernelI4downdLj256ELj4ELj100EEvPKT0_PS1_.num_agpr, 0
	.set _Z6kernelI4downdLj256ELj4ELj100EEvPKT0_PS1_.numbered_sgpr, 7
	.set _Z6kernelI4downdLj256ELj4ELj100EEvPKT0_PS1_.num_named_barrier, 0
	.set _Z6kernelI4downdLj256ELj4ELj100EEvPKT0_PS1_.private_seg_size, 0
	.set _Z6kernelI4downdLj256ELj4ELj100EEvPKT0_PS1_.uses_vcc, 1
	.set _Z6kernelI4downdLj256ELj4ELj100EEvPKT0_PS1_.uses_flat_scratch, 0
	.set _Z6kernelI4downdLj256ELj4ELj100EEvPKT0_PS1_.has_dyn_sized_stack, 0
	.set _Z6kernelI4downdLj256ELj4ELj100EEvPKT0_PS1_.has_recursion, 0
	.set _Z6kernelI4downdLj256ELj4ELj100EEvPKT0_PS1_.has_indirect_call, 0
	.section	.AMDGPU.csdata,"",@progbits
; Kernel info:
; codeLenInByte = 280
; TotalNumSgprs: 9
; NumVgprs: 14
; ScratchSize: 0
; MemoryBound: 0
; FloatMode: 240
; IeeeMode: 1
; LDSByteSize: 2048 bytes/workgroup (compile time only)
; SGPRBlocks: 0
; VGPRBlocks: 0
; NumSGPRsForWavesPerEU: 9
; NumVGPRsForWavesPerEU: 14
; NamedBarCnt: 0
; Occupancy: 16
; WaveLimiterHint : 0
; COMPUTE_PGM_RSRC2:SCRATCH_EN: 0
; COMPUTE_PGM_RSRC2:USER_SGPR: 2
; COMPUTE_PGM_RSRC2:TRAP_HANDLER: 0
; COMPUTE_PGM_RSRC2:TGID_X_EN: 1
; COMPUTE_PGM_RSRC2:TGID_Y_EN: 0
; COMPUTE_PGM_RSRC2:TGID_Z_EN: 0
; COMPUTE_PGM_RSRC2:TIDIG_COMP_CNT: 0
	.section	.text._Z6kernelI4downdLj256ELj8ELj100EEvPKT0_PS1_,"axG",@progbits,_Z6kernelI4downdLj256ELj8ELj100EEvPKT0_PS1_,comdat
	.protected	_Z6kernelI4downdLj256ELj8ELj100EEvPKT0_PS1_ ; -- Begin function _Z6kernelI4downdLj256ELj8ELj100EEvPKT0_PS1_
	.globl	_Z6kernelI4downdLj256ELj8ELj100EEvPKT0_PS1_
	.p2align	8
	.type	_Z6kernelI4downdLj256ELj8ELj100EEvPKT0_PS1_,@function
_Z6kernelI4downdLj256ELj8ELj100EEvPKT0_PS1_: ; @_Z6kernelI4downdLj256ELj8ELj100EEvPKT0_PS1_
; %bb.0:
	s_load_b128 s[0:3], s[0:1], 0x0
	s_bfe_u32 s4, ttmp6, 0x4000c
	s_and_b32 s5, ttmp6, 15
	s_add_co_i32 s4, s4, 1
	s_getreg_b32 s6, hwreg(HW_REG_IB_STS2, 6, 4)
	s_mul_i32 s4, ttmp9, s4
	v_dual_lshlrev_b32 v1, 3, v0 :: v_dual_mov_b32 v21, 0
	s_add_co_i32 s5, s5, s4
	s_cmp_eq_u32 s6, 0
	v_cmp_gt_u32_e32 vcc_lo, 0xff, v0
	s_cselect_b32 s4, ttmp9, s5
	s_delay_alu instid0(SALU_CYCLE_1) | instskip(SKIP_1) | instid1(VALU_DEP_1)
	v_lshl_or_b32 v20, s4, 11, v1
	s_wait_kmcnt 0x0
	v_lshl_add_u64 v[18:19], v[20:21], 3, s[0:1]
	s_movk_i32 s0, 0x64
	s_clause 0x3
	global_load_b128 v[2:5], v[18:19], off offset:48
	global_load_b128 v[6:9], v[18:19], off offset:32
	;; [unrolled: 1-line block ×3, first 2 shown]
	global_load_b128 v[14:17], v[18:19], off
.LBB71_1:                               ; =>This Inner Loop Header: Depth=1
	s_wait_loadcnt 0x0
	v_mov_b64_e32 v[18:19], v[16:17]
	v_mov_b64_e32 v[16:17], v[10:11]
	;; [unrolled: 1-line block ×7, first 2 shown]
	ds_store_b64 v1, v[14:15]
	s_wait_dscnt 0x0
	s_barrier_signal -1
	s_barrier_wait -1
	s_and_saveexec_b32 s1, vcc_lo
; %bb.2:                                ;   in Loop: Header=BB71_1 Depth=1
	ds_load_b64 v[4:5], v1 offset:8
; %bb.3:                                ;   in Loop: Header=BB71_1 Depth=1
	s_or_b32 exec_lo, exec_lo, s1
	s_add_co_i32 s0, s0, -1
	s_wait_dscnt 0x0
	s_cmp_lg_u32 s0, 0
	s_barrier_signal -1
	s_barrier_wait -1
	s_cbranch_scc0 .LBB71_5
; %bb.4:                                ;   in Loop: Header=BB71_1 Depth=1
	v_mov_b64_e32 v[14:15], v[18:19]
	s_branch .LBB71_1
.LBB71_5:
	v_lshl_add_u64 v[0:1], v[20:21], 3, s[2:3]
	v_dual_mov_b32 v20, v16 :: v_dual_mov_b32 v21, v17
	s_clause 0x3
	global_store_b128 v[0:1], v[18:21], off
	global_store_b128 v[0:1], v[10:13], off offset:16
	global_store_b128 v[0:1], v[6:9], off offset:32
	;; [unrolled: 1-line block ×3, first 2 shown]
	s_endpgm
	.section	.rodata,"a",@progbits
	.p2align	6, 0x0
	.amdhsa_kernel _Z6kernelI4downdLj256ELj8ELj100EEvPKT0_PS1_
		.amdhsa_group_segment_fixed_size 2048
		.amdhsa_private_segment_fixed_size 0
		.amdhsa_kernarg_size 16
		.amdhsa_user_sgpr_count 2
		.amdhsa_user_sgpr_dispatch_ptr 0
		.amdhsa_user_sgpr_queue_ptr 0
		.amdhsa_user_sgpr_kernarg_segment_ptr 1
		.amdhsa_user_sgpr_dispatch_id 0
		.amdhsa_user_sgpr_kernarg_preload_length 0
		.amdhsa_user_sgpr_kernarg_preload_offset 0
		.amdhsa_user_sgpr_private_segment_size 0
		.amdhsa_wavefront_size32 1
		.amdhsa_uses_dynamic_stack 0
		.amdhsa_enable_private_segment 0
		.amdhsa_system_sgpr_workgroup_id_x 1
		.amdhsa_system_sgpr_workgroup_id_y 0
		.amdhsa_system_sgpr_workgroup_id_z 0
		.amdhsa_system_sgpr_workgroup_info 0
		.amdhsa_system_vgpr_workitem_id 0
		.amdhsa_next_free_vgpr 22
		.amdhsa_next_free_sgpr 7
		.amdhsa_named_barrier_count 0
		.amdhsa_reserve_vcc 1
		.amdhsa_float_round_mode_32 0
		.amdhsa_float_round_mode_16_64 0
		.amdhsa_float_denorm_mode_32 3
		.amdhsa_float_denorm_mode_16_64 3
		.amdhsa_fp16_overflow 0
		.amdhsa_memory_ordered 1
		.amdhsa_forward_progress 1
		.amdhsa_inst_pref_size 3
		.amdhsa_round_robin_scheduling 0
		.amdhsa_exception_fp_ieee_invalid_op 0
		.amdhsa_exception_fp_denorm_src 0
		.amdhsa_exception_fp_ieee_div_zero 0
		.amdhsa_exception_fp_ieee_overflow 0
		.amdhsa_exception_fp_ieee_underflow 0
		.amdhsa_exception_fp_ieee_inexact 0
		.amdhsa_exception_int_div_zero 0
	.end_amdhsa_kernel
	.section	.text._Z6kernelI4downdLj256ELj8ELj100EEvPKT0_PS1_,"axG",@progbits,_Z6kernelI4downdLj256ELj8ELj100EEvPKT0_PS1_,comdat
.Lfunc_end71:
	.size	_Z6kernelI4downdLj256ELj8ELj100EEvPKT0_PS1_, .Lfunc_end71-_Z6kernelI4downdLj256ELj8ELj100EEvPKT0_PS1_
                                        ; -- End function
	.set _Z6kernelI4downdLj256ELj8ELj100EEvPKT0_PS1_.num_vgpr, 22
	.set _Z6kernelI4downdLj256ELj8ELj100EEvPKT0_PS1_.num_agpr, 0
	.set _Z6kernelI4downdLj256ELj8ELj100EEvPKT0_PS1_.numbered_sgpr, 7
	.set _Z6kernelI4downdLj256ELj8ELj100EEvPKT0_PS1_.num_named_barrier, 0
	.set _Z6kernelI4downdLj256ELj8ELj100EEvPKT0_PS1_.private_seg_size, 0
	.set _Z6kernelI4downdLj256ELj8ELj100EEvPKT0_PS1_.uses_vcc, 1
	.set _Z6kernelI4downdLj256ELj8ELj100EEvPKT0_PS1_.uses_flat_scratch, 0
	.set _Z6kernelI4downdLj256ELj8ELj100EEvPKT0_PS1_.has_dyn_sized_stack, 0
	.set _Z6kernelI4downdLj256ELj8ELj100EEvPKT0_PS1_.has_recursion, 0
	.set _Z6kernelI4downdLj256ELj8ELj100EEvPKT0_PS1_.has_indirect_call, 0
	.section	.AMDGPU.csdata,"",@progbits
; Kernel info:
; codeLenInByte = 316
; TotalNumSgprs: 9
; NumVgprs: 22
; ScratchSize: 0
; MemoryBound: 1
; FloatMode: 240
; IeeeMode: 1
; LDSByteSize: 2048 bytes/workgroup (compile time only)
; SGPRBlocks: 0
; VGPRBlocks: 1
; NumSGPRsForWavesPerEU: 9
; NumVGPRsForWavesPerEU: 22
; NamedBarCnt: 0
; Occupancy: 16
; WaveLimiterHint : 0
; COMPUTE_PGM_RSRC2:SCRATCH_EN: 0
; COMPUTE_PGM_RSRC2:USER_SGPR: 2
; COMPUTE_PGM_RSRC2:TRAP_HANDLER: 0
; COMPUTE_PGM_RSRC2:TGID_X_EN: 1
; COMPUTE_PGM_RSRC2:TGID_Y_EN: 0
; COMPUTE_PGM_RSRC2:TGID_Z_EN: 0
; COMPUTE_PGM_RSRC2:TIDIG_COMP_CNT: 0
	.section	.text._Z6kernelI4downdLj256ELj16ELj100EEvPKT0_PS1_,"axG",@progbits,_Z6kernelI4downdLj256ELj16ELj100EEvPKT0_PS1_,comdat
	.protected	_Z6kernelI4downdLj256ELj16ELj100EEvPKT0_PS1_ ; -- Begin function _Z6kernelI4downdLj256ELj16ELj100EEvPKT0_PS1_
	.globl	_Z6kernelI4downdLj256ELj16ELj100EEvPKT0_PS1_
	.p2align	8
	.type	_Z6kernelI4downdLj256ELj16ELj100EEvPKT0_PS1_,@function
_Z6kernelI4downdLj256ELj16ELj100EEvPKT0_PS1_: ; @_Z6kernelI4downdLj256ELj16ELj100EEvPKT0_PS1_
; %bb.0:
	s_load_b128 s[0:3], s[0:1], 0x0
	s_bfe_u32 s4, ttmp6, 0x4000c
	s_and_b32 s5, ttmp6, 15
	s_add_co_i32 s4, s4, 1
	s_getreg_b32 s6, hwreg(HW_REG_IB_STS2, 6, 4)
	s_mul_i32 s4, ttmp9, s4
	v_dual_lshlrev_b32 v1, 4, v0 :: v_dual_mov_b32 v37, 0
	s_add_co_i32 s5, s5, s4
	s_cmp_eq_u32 s6, 0
	v_cmp_gt_u32_e32 vcc_lo, 0xff, v0
	s_cselect_b32 s4, ttmp9, s5
	s_delay_alu instid0(SALU_CYCLE_1) | instskip(SKIP_2) | instid1(VALU_DEP_2)
	v_lshl_or_b32 v36, s4, 12, v1
	v_lshlrev_b32_e32 v1, 3, v0
	s_wait_kmcnt 0x0
	v_lshl_add_u64 v[34:35], v[36:37], 3, s[0:1]
	s_movk_i32 s0, 0x64
	s_clause 0x7
	global_load_b128 v[2:5], v[34:35], off offset:48
	global_load_b128 v[6:9], v[34:35], off offset:32
	global_load_b128 v[14:17], v[34:35], off offset:16
	global_load_b128 v[22:25], v[34:35], off
	global_load_b128 v[10:13], v[34:35], off offset:112
	global_load_b128 v[18:21], v[34:35], off offset:96
	global_load_b128 v[26:29], v[34:35], off offset:80
	global_load_b128 v[30:33], v[34:35], off offset:64
.LBB72_1:                               ; =>This Inner Loop Header: Depth=1
	s_wait_loadcnt 0x4
	s_wait_xcnt 0x0
	v_mov_b64_e32 v[34:35], v[24:25]
	v_mov_b64_e32 v[24:25], v[14:15]
	;; [unrolled: 1-line block ×7, first 2 shown]
	s_wait_loadcnt 0x0
	v_mov_b64_e32 v[4:5], v[30:31]
	v_mov_b64_e32 v[30:31], v[32:33]
	;; [unrolled: 1-line block ×8, first 2 shown]
	ds_store_b64 v1, v[22:23]
	s_wait_dscnt 0x0
	s_barrier_signal -1
	s_barrier_wait -1
	s_and_saveexec_b32 s1, vcc_lo
; %bb.2:                                ;   in Loop: Header=BB72_1 Depth=1
	ds_load_b64 v[12:13], v1 offset:8
; %bb.3:                                ;   in Loop: Header=BB72_1 Depth=1
	s_or_b32 exec_lo, exec_lo, s1
	s_add_co_i32 s0, s0, -1
	s_wait_dscnt 0x0
	s_cmp_lg_u32 s0, 0
	s_barrier_signal -1
	s_barrier_wait -1
	s_cbranch_scc0 .LBB72_5
; %bb.4:                                ;   in Loop: Header=BB72_1 Depth=1
	v_mov_b64_e32 v[22:23], v[34:35]
	s_branch .LBB72_1
.LBB72_5:
	v_lshl_add_u64 v[0:1], v[36:37], 3, s[2:3]
	v_dual_mov_b32 v36, v24 :: v_dual_mov_b32 v37, v25
	s_clause 0x7
	global_store_b128 v[0:1], v[34:37], off
	global_store_b128 v[0:1], v[14:17], off offset:16
	global_store_b128 v[0:1], v[6:9], off offset:32
	;; [unrolled: 1-line block ×7, first 2 shown]
	s_endpgm
	.section	.rodata,"a",@progbits
	.p2align	6, 0x0
	.amdhsa_kernel _Z6kernelI4downdLj256ELj16ELj100EEvPKT0_PS1_
		.amdhsa_group_segment_fixed_size 2048
		.amdhsa_private_segment_fixed_size 0
		.amdhsa_kernarg_size 16
		.amdhsa_user_sgpr_count 2
		.amdhsa_user_sgpr_dispatch_ptr 0
		.amdhsa_user_sgpr_queue_ptr 0
		.amdhsa_user_sgpr_kernarg_segment_ptr 1
		.amdhsa_user_sgpr_dispatch_id 0
		.amdhsa_user_sgpr_kernarg_preload_length 0
		.amdhsa_user_sgpr_kernarg_preload_offset 0
		.amdhsa_user_sgpr_private_segment_size 0
		.amdhsa_wavefront_size32 1
		.amdhsa_uses_dynamic_stack 0
		.amdhsa_enable_private_segment 0
		.amdhsa_system_sgpr_workgroup_id_x 1
		.amdhsa_system_sgpr_workgroup_id_y 0
		.amdhsa_system_sgpr_workgroup_id_z 0
		.amdhsa_system_sgpr_workgroup_info 0
		.amdhsa_system_vgpr_workitem_id 0
		.amdhsa_next_free_vgpr 38
		.amdhsa_next_free_sgpr 7
		.amdhsa_named_barrier_count 0
		.amdhsa_reserve_vcc 1
		.amdhsa_float_round_mode_32 0
		.amdhsa_float_round_mode_16_64 0
		.amdhsa_float_denorm_mode_32 3
		.amdhsa_float_denorm_mode_16_64 3
		.amdhsa_fp16_overflow 0
		.amdhsa_memory_ordered 1
		.amdhsa_forward_progress 1
		.amdhsa_inst_pref_size 4
		.amdhsa_round_robin_scheduling 0
		.amdhsa_exception_fp_ieee_invalid_op 0
		.amdhsa_exception_fp_denorm_src 0
		.amdhsa_exception_fp_ieee_div_zero 0
		.amdhsa_exception_fp_ieee_overflow 0
		.amdhsa_exception_fp_ieee_underflow 0
		.amdhsa_exception_fp_ieee_inexact 0
		.amdhsa_exception_int_div_zero 0
	.end_amdhsa_kernel
	.section	.text._Z6kernelI4downdLj256ELj16ELj100EEvPKT0_PS1_,"axG",@progbits,_Z6kernelI4downdLj256ELj16ELj100EEvPKT0_PS1_,comdat
.Lfunc_end72:
	.size	_Z6kernelI4downdLj256ELj16ELj100EEvPKT0_PS1_, .Lfunc_end72-_Z6kernelI4downdLj256ELj16ELj100EEvPKT0_PS1_
                                        ; -- End function
	.set _Z6kernelI4downdLj256ELj16ELj100EEvPKT0_PS1_.num_vgpr, 38
	.set _Z6kernelI4downdLj256ELj16ELj100EEvPKT0_PS1_.num_agpr, 0
	.set _Z6kernelI4downdLj256ELj16ELj100EEvPKT0_PS1_.numbered_sgpr, 7
	.set _Z6kernelI4downdLj256ELj16ELj100EEvPKT0_PS1_.num_named_barrier, 0
	.set _Z6kernelI4downdLj256ELj16ELj100EEvPKT0_PS1_.private_seg_size, 0
	.set _Z6kernelI4downdLj256ELj16ELj100EEvPKT0_PS1_.uses_vcc, 1
	.set _Z6kernelI4downdLj256ELj16ELj100EEvPKT0_PS1_.uses_flat_scratch, 0
	.set _Z6kernelI4downdLj256ELj16ELj100EEvPKT0_PS1_.has_dyn_sized_stack, 0
	.set _Z6kernelI4downdLj256ELj16ELj100EEvPKT0_PS1_.has_recursion, 0
	.set _Z6kernelI4downdLj256ELj16ELj100EEvPKT0_PS1_.has_indirect_call, 0
	.section	.AMDGPU.csdata,"",@progbits
; Kernel info:
; codeLenInByte = 456
; TotalNumSgprs: 9
; NumVgprs: 38
; ScratchSize: 0
; MemoryBound: 1
; FloatMode: 240
; IeeeMode: 1
; LDSByteSize: 2048 bytes/workgroup (compile time only)
; SGPRBlocks: 0
; VGPRBlocks: 2
; NumSGPRsForWavesPerEU: 9
; NumVGPRsForWavesPerEU: 38
; NamedBarCnt: 0
; Occupancy: 16
; WaveLimiterHint : 0
; COMPUTE_PGM_RSRC2:SCRATCH_EN: 0
; COMPUTE_PGM_RSRC2:USER_SGPR: 2
; COMPUTE_PGM_RSRC2:TRAP_HANDLER: 0
; COMPUTE_PGM_RSRC2:TGID_X_EN: 1
; COMPUTE_PGM_RSRC2:TGID_Y_EN: 0
; COMPUTE_PGM_RSRC2:TGID_Z_EN: 0
; COMPUTE_PGM_RSRC2:TIDIG_COMP_CNT: 0
	.section	.text._Z6kernelI4downdLj256ELj32ELj100EEvPKT0_PS1_,"axG",@progbits,_Z6kernelI4downdLj256ELj32ELj100EEvPKT0_PS1_,comdat
	.protected	_Z6kernelI4downdLj256ELj32ELj100EEvPKT0_PS1_ ; -- Begin function _Z6kernelI4downdLj256ELj32ELj100EEvPKT0_PS1_
	.globl	_Z6kernelI4downdLj256ELj32ELj100EEvPKT0_PS1_
	.p2align	8
	.type	_Z6kernelI4downdLj256ELj32ELj100EEvPKT0_PS1_,@function
_Z6kernelI4downdLj256ELj32ELj100EEvPKT0_PS1_: ; @_Z6kernelI4downdLj256ELj32ELj100EEvPKT0_PS1_
; %bb.0:
	s_load_b128 s[0:3], s[0:1], 0x0
	s_bfe_u32 s4, ttmp6, 0x4000c
	s_and_b32 s5, ttmp6, 15
	s_add_co_i32 s4, s4, 1
	s_getreg_b32 s6, hwreg(HW_REG_IB_STS2, 6, 4)
	s_mul_i32 s4, ttmp9, s4
	v_dual_lshlrev_b32 v1, 5, v0 :: v_dual_mov_b32 v69, 0
	s_add_co_i32 s5, s5, s4
	s_cmp_eq_u32 s6, 0
	v_cmp_gt_u32_e32 vcc_lo, 0xff, v0
	s_cselect_b32 s4, ttmp9, s5
	s_delay_alu instid0(SALU_CYCLE_1) | instskip(SKIP_2) | instid1(VALU_DEP_2)
	v_lshl_or_b32 v68, s4, 13, v1
	v_lshlrev_b32_e32 v1, 3, v0
	s_wait_kmcnt 0x0
	v_lshl_add_u64 v[18:19], v[68:69], 3, s[0:1]
	s_movk_i32 s0, 0x64
	s_clause 0xf
	global_load_b128 v[46:49], v[18:19], off offset:48
	global_load_b128 v[54:57], v[18:19], off offset:32
	;; [unrolled: 1-line block ×3, first 2 shown]
	global_load_b128 v[62:65], v[18:19], off
	global_load_b128 v[30:33], v[18:19], off offset:112
	global_load_b128 v[38:41], v[18:19], off offset:96
	;; [unrolled: 1-line block ×12, first 2 shown]
.LBB73_1:                               ; =>This Inner Loop Header: Depth=1
	s_wait_loadcnt 0xc
	v_mov_b64_e32 v[66:67], v[64:65]
	v_mov_b64_e32 v[64:65], v[58:59]
	v_mov_b64_e32 v[58:59], v[60:61]
	v_mov_b64_e32 v[60:61], v[54:55]
	v_mov_b64_e32 v[54:55], v[56:57]
	v_mov_b64_e32 v[56:57], v[46:47]
	v_mov_b64_e32 v[46:47], v[48:49]
	s_wait_loadcnt 0x8
	v_mov_b64_e32 v[48:49], v[50:51]
	v_mov_b64_e32 v[50:51], v[52:53]
	v_mov_b64_e32 v[52:53], v[42:43]
	v_mov_b64_e32 v[42:43], v[44:45]
	v_mov_b64_e32 v[44:45], v[38:39]
	v_mov_b64_e32 v[38:39], v[40:41]
	v_mov_b64_e32 v[40:41], v[30:31]
	v_mov_b64_e32 v[30:31], v[32:33]
	s_wait_loadcnt 0x4
	v_mov_b64_e32 v[32:33], v[34:35]
	;; [unrolled: 9-line block ×3, first 2 shown]
	v_mov_b64_e32 v[18:19], v[20:21]
	v_mov_b64_e32 v[20:21], v[10:11]
	;; [unrolled: 1-line block ×7, first 2 shown]
	ds_store_b64 v1, v[62:63]
	s_wait_dscnt 0x0
	s_barrier_signal -1
	s_barrier_wait -1
	s_and_saveexec_b32 s1, vcc_lo
; %bb.2:                                ;   in Loop: Header=BB73_1 Depth=1
	ds_load_b64 v[4:5], v1 offset:8
; %bb.3:                                ;   in Loop: Header=BB73_1 Depth=1
	s_or_b32 exec_lo, exec_lo, s1
	s_add_co_i32 s0, s0, -1
	s_wait_dscnt 0x0
	s_cmp_lg_u32 s0, 0
	s_barrier_signal -1
	s_barrier_wait -1
	s_cbranch_scc0 .LBB73_5
; %bb.4:                                ;   in Loop: Header=BB73_1 Depth=1
	v_mov_b64_e32 v[62:63], v[66:67]
	s_branch .LBB73_1
.LBB73_5:
	v_lshl_add_u64 v[0:1], v[68:69], 3, s[2:3]
	v_dual_mov_b32 v68, v64 :: v_dual_mov_b32 v69, v65
	s_clause 0xf
	global_store_b128 v[0:1], v[66:69], off
	global_store_b128 v[0:1], v[58:61], off offset:16
	global_store_b128 v[0:1], v[54:57], off offset:32
	global_store_b128 v[0:1], v[46:49], off offset:48
	global_store_b128 v[0:1], v[50:53], off offset:64
	global_store_b128 v[0:1], v[42:45], off offset:80
	global_store_b128 v[0:1], v[38:41], off offset:96
	global_store_b128 v[0:1], v[30:33], off offset:112
	global_store_b128 v[0:1], v[34:37], off offset:128
	global_store_b128 v[0:1], v[26:29], off offset:144
	global_store_b128 v[0:1], v[22:25], off offset:160
	global_store_b128 v[0:1], v[14:17], off offset:176
	global_store_b128 v[0:1], v[18:21], off offset:192
	global_store_b128 v[0:1], v[10:13], off offset:208
	global_store_b128 v[0:1], v[6:9], off offset:224
	global_store_b128 v[0:1], v[2:5], off offset:240
	s_sendmsg sendmsg(MSG_DEALLOC_VGPRS)
	s_endpgm
	.section	.rodata,"a",@progbits
	.p2align	6, 0x0
	.amdhsa_kernel _Z6kernelI4downdLj256ELj32ELj100EEvPKT0_PS1_
		.amdhsa_group_segment_fixed_size 2048
		.amdhsa_private_segment_fixed_size 0
		.amdhsa_kernarg_size 16
		.amdhsa_user_sgpr_count 2
		.amdhsa_user_sgpr_dispatch_ptr 0
		.amdhsa_user_sgpr_queue_ptr 0
		.amdhsa_user_sgpr_kernarg_segment_ptr 1
		.amdhsa_user_sgpr_dispatch_id 0
		.amdhsa_user_sgpr_kernarg_preload_length 0
		.amdhsa_user_sgpr_kernarg_preload_offset 0
		.amdhsa_user_sgpr_private_segment_size 0
		.amdhsa_wavefront_size32 1
		.amdhsa_uses_dynamic_stack 0
		.amdhsa_enable_private_segment 0
		.amdhsa_system_sgpr_workgroup_id_x 1
		.amdhsa_system_sgpr_workgroup_id_y 0
		.amdhsa_system_sgpr_workgroup_id_z 0
		.amdhsa_system_sgpr_workgroup_info 0
		.amdhsa_system_vgpr_workitem_id 0
		.amdhsa_next_free_vgpr 70
		.amdhsa_next_free_sgpr 7
		.amdhsa_named_barrier_count 0
		.amdhsa_reserve_vcc 1
		.amdhsa_float_round_mode_32 0
		.amdhsa_float_round_mode_16_64 0
		.amdhsa_float_denorm_mode_32 3
		.amdhsa_float_denorm_mode_16_64 3
		.amdhsa_fp16_overflow 0
		.amdhsa_memory_ordered 1
		.amdhsa_forward_progress 1
		.amdhsa_inst_pref_size 6
		.amdhsa_round_robin_scheduling 0
		.amdhsa_exception_fp_ieee_invalid_op 0
		.amdhsa_exception_fp_denorm_src 0
		.amdhsa_exception_fp_ieee_div_zero 0
		.amdhsa_exception_fp_ieee_overflow 0
		.amdhsa_exception_fp_ieee_underflow 0
		.amdhsa_exception_fp_ieee_inexact 0
		.amdhsa_exception_int_div_zero 0
	.end_amdhsa_kernel
	.section	.text._Z6kernelI4downdLj256ELj32ELj100EEvPKT0_PS1_,"axG",@progbits,_Z6kernelI4downdLj256ELj32ELj100EEvPKT0_PS1_,comdat
.Lfunc_end73:
	.size	_Z6kernelI4downdLj256ELj32ELj100EEvPKT0_PS1_, .Lfunc_end73-_Z6kernelI4downdLj256ELj32ELj100EEvPKT0_PS1_
                                        ; -- End function
	.set _Z6kernelI4downdLj256ELj32ELj100EEvPKT0_PS1_.num_vgpr, 70
	.set _Z6kernelI4downdLj256ELj32ELj100EEvPKT0_PS1_.num_agpr, 0
	.set _Z6kernelI4downdLj256ELj32ELj100EEvPKT0_PS1_.numbered_sgpr, 7
	.set _Z6kernelI4downdLj256ELj32ELj100EEvPKT0_PS1_.num_named_barrier, 0
	.set _Z6kernelI4downdLj256ELj32ELj100EEvPKT0_PS1_.private_seg_size, 0
	.set _Z6kernelI4downdLj256ELj32ELj100EEvPKT0_PS1_.uses_vcc, 1
	.set _Z6kernelI4downdLj256ELj32ELj100EEvPKT0_PS1_.uses_flat_scratch, 0
	.set _Z6kernelI4downdLj256ELj32ELj100EEvPKT0_PS1_.has_dyn_sized_stack, 0
	.set _Z6kernelI4downdLj256ELj32ELj100EEvPKT0_PS1_.has_recursion, 0
	.set _Z6kernelI4downdLj256ELj32ELj100EEvPKT0_PS1_.has_indirect_call, 0
	.section	.AMDGPU.csdata,"",@progbits
; Kernel info:
; codeLenInByte = 720
; TotalNumSgprs: 9
; NumVgprs: 70
; ScratchSize: 0
; MemoryBound: 1
; FloatMode: 240
; IeeeMode: 1
; LDSByteSize: 2048 bytes/workgroup (compile time only)
; SGPRBlocks: 0
; VGPRBlocks: 4
; NumSGPRsForWavesPerEU: 9
; NumVGPRsForWavesPerEU: 70
; NamedBarCnt: 0
; Occupancy: 12
; WaveLimiterHint : 0
; COMPUTE_PGM_RSRC2:SCRATCH_EN: 0
; COMPUTE_PGM_RSRC2:USER_SGPR: 2
; COMPUTE_PGM_RSRC2:TRAP_HANDLER: 0
; COMPUTE_PGM_RSRC2:TGID_X_EN: 1
; COMPUTE_PGM_RSRC2:TGID_Y_EN: 0
; COMPUTE_PGM_RSRC2:TGID_Z_EN: 0
; COMPUTE_PGM_RSRC2:TIDIG_COMP_CNT: 0
	.section	.text._Z6kernelI4downaLj256ELj1ELj100EEvPKT0_PS1_,"axG",@progbits,_Z6kernelI4downaLj256ELj1ELj100EEvPKT0_PS1_,comdat
	.protected	_Z6kernelI4downaLj256ELj1ELj100EEvPKT0_PS1_ ; -- Begin function _Z6kernelI4downaLj256ELj1ELj100EEvPKT0_PS1_
	.globl	_Z6kernelI4downaLj256ELj1ELj100EEvPKT0_PS1_
	.p2align	8
	.type	_Z6kernelI4downaLj256ELj1ELj100EEvPKT0_PS1_,@function
_Z6kernelI4downaLj256ELj1ELj100EEvPKT0_PS1_: ; @_Z6kernelI4downaLj256ELj1ELj100EEvPKT0_PS1_
; %bb.0:
	s_load_b128 s[0:3], s[0:1], 0x0
	s_bfe_u32 s4, ttmp6, 0x4000c
	s_and_b32 s5, ttmp6, 15
	s_add_co_i32 s4, s4, 1
	s_getreg_b32 s6, hwreg(HW_REG_IB_STS2, 6, 4)
	s_mul_i32 s4, ttmp9, s4
	v_mov_b32_e32 v3, 0
	s_add_co_i32 s5, s5, s4
	s_cmp_eq_u32 s6, 0
	v_cmp_gt_u32_e32 vcc_lo, 0xff, v0
	s_cselect_b32 s4, ttmp9, s5
	s_delay_alu instid0(SALU_CYCLE_1)
	v_lshl_or_b32 v2, s4, 8, v0
	s_wait_kmcnt 0x0
	global_load_u8 v1, v2, s[0:1]
	s_wait_xcnt 0x0
	s_movk_i32 s0, 0x64
	s_branch .LBB74_2
.LBB74_1:                               ;   in Loop: Header=BB74_2 Depth=1
	s_or_b32 exec_lo, exec_lo, s1
	s_add_co_i32 s0, s0, -1
	s_wait_dscnt 0x0
	s_cmp_lg_u32 s0, 0
	s_barrier_signal -1
	s_barrier_wait -1
	s_cbranch_scc0 .LBB74_4
.LBB74_2:                               ; =>This Inner Loop Header: Depth=1
	s_wait_loadcnt 0x0
	ds_store_b8 v0, v1
	s_wait_dscnt 0x0
	s_barrier_signal -1
	s_barrier_wait -1
	s_and_saveexec_b32 s1, vcc_lo
	s_cbranch_execz .LBB74_1
; %bb.3:                                ;   in Loop: Header=BB74_2 Depth=1
	ds_load_u8 v1, v0 offset:1
	s_branch .LBB74_1
.LBB74_4:
	v_add_nc_u64_e32 v[2:3], s[2:3], v[2:3]
	global_store_b8 v[2:3], v1, off
	s_endpgm
	.section	.rodata,"a",@progbits
	.p2align	6, 0x0
	.amdhsa_kernel _Z6kernelI4downaLj256ELj1ELj100EEvPKT0_PS1_
		.amdhsa_group_segment_fixed_size 256
		.amdhsa_private_segment_fixed_size 0
		.amdhsa_kernarg_size 16
		.amdhsa_user_sgpr_count 2
		.amdhsa_user_sgpr_dispatch_ptr 0
		.amdhsa_user_sgpr_queue_ptr 0
		.amdhsa_user_sgpr_kernarg_segment_ptr 1
		.amdhsa_user_sgpr_dispatch_id 0
		.amdhsa_user_sgpr_kernarg_preload_length 0
		.amdhsa_user_sgpr_kernarg_preload_offset 0
		.amdhsa_user_sgpr_private_segment_size 0
		.amdhsa_wavefront_size32 1
		.amdhsa_uses_dynamic_stack 0
		.amdhsa_enable_private_segment 0
		.amdhsa_system_sgpr_workgroup_id_x 1
		.amdhsa_system_sgpr_workgroup_id_y 0
		.amdhsa_system_sgpr_workgroup_id_z 0
		.amdhsa_system_sgpr_workgroup_info 0
		.amdhsa_system_vgpr_workitem_id 0
		.amdhsa_next_free_vgpr 4
		.amdhsa_next_free_sgpr 7
		.amdhsa_named_barrier_count 0
		.amdhsa_reserve_vcc 1
		.amdhsa_float_round_mode_32 0
		.amdhsa_float_round_mode_16_64 0
		.amdhsa_float_denorm_mode_32 3
		.amdhsa_float_denorm_mode_16_64 3
		.amdhsa_fp16_overflow 0
		.amdhsa_memory_ordered 1
		.amdhsa_forward_progress 1
		.amdhsa_inst_pref_size 2
		.amdhsa_round_robin_scheduling 0
		.amdhsa_exception_fp_ieee_invalid_op 0
		.amdhsa_exception_fp_denorm_src 0
		.amdhsa_exception_fp_ieee_div_zero 0
		.amdhsa_exception_fp_ieee_overflow 0
		.amdhsa_exception_fp_ieee_underflow 0
		.amdhsa_exception_fp_ieee_inexact 0
		.amdhsa_exception_int_div_zero 0
	.end_amdhsa_kernel
	.section	.text._Z6kernelI4downaLj256ELj1ELj100EEvPKT0_PS1_,"axG",@progbits,_Z6kernelI4downaLj256ELj1ELj100EEvPKT0_PS1_,comdat
.Lfunc_end74:
	.size	_Z6kernelI4downaLj256ELj1ELj100EEvPKT0_PS1_, .Lfunc_end74-_Z6kernelI4downaLj256ELj1ELj100EEvPKT0_PS1_
                                        ; -- End function
	.set _Z6kernelI4downaLj256ELj1ELj100EEvPKT0_PS1_.num_vgpr, 4
	.set _Z6kernelI4downaLj256ELj1ELj100EEvPKT0_PS1_.num_agpr, 0
	.set _Z6kernelI4downaLj256ELj1ELj100EEvPKT0_PS1_.numbered_sgpr, 7
	.set _Z6kernelI4downaLj256ELj1ELj100EEvPKT0_PS1_.num_named_barrier, 0
	.set _Z6kernelI4downaLj256ELj1ELj100EEvPKT0_PS1_.private_seg_size, 0
	.set _Z6kernelI4downaLj256ELj1ELj100EEvPKT0_PS1_.uses_vcc, 1
	.set _Z6kernelI4downaLj256ELj1ELj100EEvPKT0_PS1_.uses_flat_scratch, 0
	.set _Z6kernelI4downaLj256ELj1ELj100EEvPKT0_PS1_.has_dyn_sized_stack, 0
	.set _Z6kernelI4downaLj256ELj1ELj100EEvPKT0_PS1_.has_recursion, 0
	.set _Z6kernelI4downaLj256ELj1ELj100EEvPKT0_PS1_.has_indirect_call, 0
	.section	.AMDGPU.csdata,"",@progbits
; Kernel info:
; codeLenInByte = 188
; TotalNumSgprs: 9
; NumVgprs: 4
; ScratchSize: 0
; MemoryBound: 0
; FloatMode: 240
; IeeeMode: 1
; LDSByteSize: 256 bytes/workgroup (compile time only)
; SGPRBlocks: 0
; VGPRBlocks: 0
; NumSGPRsForWavesPerEU: 9
; NumVGPRsForWavesPerEU: 4
; NamedBarCnt: 0
; Occupancy: 16
; WaveLimiterHint : 0
; COMPUTE_PGM_RSRC2:SCRATCH_EN: 0
; COMPUTE_PGM_RSRC2:USER_SGPR: 2
; COMPUTE_PGM_RSRC2:TRAP_HANDLER: 0
; COMPUTE_PGM_RSRC2:TGID_X_EN: 1
; COMPUTE_PGM_RSRC2:TGID_Y_EN: 0
; COMPUTE_PGM_RSRC2:TGID_Z_EN: 0
; COMPUTE_PGM_RSRC2:TIDIG_COMP_CNT: 0
	.section	.text._Z6kernelI4downaLj256ELj3ELj100EEvPKT0_PS1_,"axG",@progbits,_Z6kernelI4downaLj256ELj3ELj100EEvPKT0_PS1_,comdat
	.protected	_Z6kernelI4downaLj256ELj3ELj100EEvPKT0_PS1_ ; -- Begin function _Z6kernelI4downaLj256ELj3ELj100EEvPKT0_PS1_
	.globl	_Z6kernelI4downaLj256ELj3ELj100EEvPKT0_PS1_
	.p2align	8
	.type	_Z6kernelI4downaLj256ELj3ELj100EEvPKT0_PS1_,@function
_Z6kernelI4downaLj256ELj3ELj100EEvPKT0_PS1_: ; @_Z6kernelI4downaLj256ELj3ELj100EEvPKT0_PS1_
; %bb.0:
	s_bfe_u32 s4, ttmp6, 0x4000c
	s_and_b32 s5, ttmp6, 15
	s_add_co_i32 s4, s4, 1
	s_load_b128 s[0:3], s[0:1], 0x0
	s_mul_i32 s4, ttmp9, s4
	s_getreg_b32 s6, hwreg(HW_REG_IB_STS2, 6, 4)
	s_add_co_i32 s5, s5, s4
	s_cmp_eq_u32 s6, 0
	v_mov_b32_e32 v3, 0
	s_cselect_b32 s4, ttmp9, s5
	v_cmp_gt_u32_e32 vcc_lo, 0xff, v0
	v_lshl_or_b32 v1, s4, 8, v0
	s_delay_alu instid0(VALU_DEP_3) | instskip(NEXT) | instid1(VALU_DEP_2)
	v_mov_b32_e32 v7, v3
	v_lshl_add_u32 v2, v1, 1, v1
	s_delay_alu instid0(VALU_DEP_1)
	v_dual_add_nc_u32 v4, 1, v2 :: v_dual_add_nc_u32 v6, 2, v2
	s_wait_kmcnt 0x0
	s_clause 0x2
	global_load_u8 v1, v2, s[0:1]
	global_load_u8 v5, v4, s[0:1]
	;; [unrolled: 1-line block ×3, first 2 shown]
	s_wait_xcnt 0x0
	s_movk_i32 s0, 0x64
	s_wait_loadcnt 0x1
	v_perm_b32 v1, v1, v5, 0xc0c0004
	v_mov_b32_e32 v5, v3
	s_wait_loadcnt 0x0
	s_delay_alu instid0(VALU_DEP_2)
	v_lshl_or_b32 v1, v8, 16, v1
	s_branch .LBB75_2
.LBB75_1:                               ;   in Loop: Header=BB75_2 Depth=1
	s_or_b32 exec_lo, exec_lo, s1
	s_add_co_i32 s0, s0, -1
	s_delay_alu instid0(SALU_CYCLE_1)
	s_cmp_lg_u32 s0, 0
	s_barrier_signal -1
	s_barrier_wait -1
	s_cbranch_scc0 .LBB75_4
.LBB75_2:                               ; =>This Inner Loop Header: Depth=1
	s_delay_alu instid0(VALU_DEP_1)
	v_perm_b32 v8, v1, v1, 0x7060605
	ds_store_b8 v0, v1
	s_wait_dscnt 0x0
	s_barrier_signal -1
	s_barrier_wait -1
	v_lshrrev_b32_e32 v9, 8, v8
	s_delay_alu instid0(VALU_DEP_1) | instskip(NEXT) | instid1(VALU_DEP_1)
	v_lshlrev_b16 v9, 8, v9
	v_bitop3_b16 v8, v8, v9, 0xff bitop3:0xec
	s_delay_alu instid0(VALU_DEP_1) | instskip(NEXT) | instid1(VALU_DEP_1)
	v_and_b32_e32 v8, 0xffff, v8
	v_and_or_b32 v1, 0xff0000, v1, v8
	s_and_saveexec_b32 s1, vcc_lo
	s_cbranch_execz .LBB75_1
; %bb.3:                                ;   in Loop: Header=BB75_2 Depth=1
	s_delay_alu instid0(VALU_DEP_1) | instskip(SKIP_2) | instid1(VALU_DEP_1)
	v_lshrrev_b32_e32 v8, 8, v1
	ds_load_u8 v9, v0 offset:1
	v_lshlrev_b16 v8, 8, v8
	v_bitop3_b16 v1, v1, v8, 0xff bitop3:0xec
	s_delay_alu instid0(VALU_DEP_1) | instskip(SKIP_1) | instid1(VALU_DEP_1)
	v_and_b32_e32 v1, 0xffff, v1
	s_wait_dscnt 0x0
	v_lshl_or_b32 v1, v9, 16, v1
	s_branch .LBB75_1
.LBB75_4:
	v_add_nc_u64_e32 v[2:3], s[2:3], v[2:3]
	v_add_nc_u64_e32 v[4:5], s[2:3], v[4:5]
	;; [unrolled: 1-line block ×3, first 2 shown]
	v_lshrrev_b32_e32 v0, 8, v1
	s_clause 0x2
	global_store_b8 v[2:3], v1, off
	global_store_b8 v[4:5], v0, off
	global_store_d16_hi_b8 v[6:7], v1, off
	s_endpgm
	.section	.rodata,"a",@progbits
	.p2align	6, 0x0
	.amdhsa_kernel _Z6kernelI4downaLj256ELj3ELj100EEvPKT0_PS1_
		.amdhsa_group_segment_fixed_size 256
		.amdhsa_private_segment_fixed_size 0
		.amdhsa_kernarg_size 16
		.amdhsa_user_sgpr_count 2
		.amdhsa_user_sgpr_dispatch_ptr 0
		.amdhsa_user_sgpr_queue_ptr 0
		.amdhsa_user_sgpr_kernarg_segment_ptr 1
		.amdhsa_user_sgpr_dispatch_id 0
		.amdhsa_user_sgpr_kernarg_preload_length 0
		.amdhsa_user_sgpr_kernarg_preload_offset 0
		.amdhsa_user_sgpr_private_segment_size 0
		.amdhsa_wavefront_size32 1
		.amdhsa_uses_dynamic_stack 0
		.amdhsa_enable_private_segment 0
		.amdhsa_system_sgpr_workgroup_id_x 1
		.amdhsa_system_sgpr_workgroup_id_y 0
		.amdhsa_system_sgpr_workgroup_id_z 0
		.amdhsa_system_sgpr_workgroup_info 0
		.amdhsa_system_vgpr_workitem_id 0
		.amdhsa_next_free_vgpr 10
		.amdhsa_next_free_sgpr 7
		.amdhsa_named_barrier_count 0
		.amdhsa_reserve_vcc 1
		.amdhsa_float_round_mode_32 0
		.amdhsa_float_round_mode_16_64 0
		.amdhsa_float_denorm_mode_32 3
		.amdhsa_float_denorm_mode_16_64 3
		.amdhsa_fp16_overflow 0
		.amdhsa_memory_ordered 1
		.amdhsa_forward_progress 1
		.amdhsa_inst_pref_size 4
		.amdhsa_round_robin_scheduling 0
		.amdhsa_exception_fp_ieee_invalid_op 0
		.amdhsa_exception_fp_denorm_src 0
		.amdhsa_exception_fp_ieee_div_zero 0
		.amdhsa_exception_fp_ieee_overflow 0
		.amdhsa_exception_fp_ieee_underflow 0
		.amdhsa_exception_fp_ieee_inexact 0
		.amdhsa_exception_int_div_zero 0
	.end_amdhsa_kernel
	.section	.text._Z6kernelI4downaLj256ELj3ELj100EEvPKT0_PS1_,"axG",@progbits,_Z6kernelI4downaLj256ELj3ELj100EEvPKT0_PS1_,comdat
.Lfunc_end75:
	.size	_Z6kernelI4downaLj256ELj3ELj100EEvPKT0_PS1_, .Lfunc_end75-_Z6kernelI4downaLj256ELj3ELj100EEvPKT0_PS1_
                                        ; -- End function
	.set _Z6kernelI4downaLj256ELj3ELj100EEvPKT0_PS1_.num_vgpr, 10
	.set _Z6kernelI4downaLj256ELj3ELj100EEvPKT0_PS1_.num_agpr, 0
	.set _Z6kernelI4downaLj256ELj3ELj100EEvPKT0_PS1_.numbered_sgpr, 7
	.set _Z6kernelI4downaLj256ELj3ELj100EEvPKT0_PS1_.num_named_barrier, 0
	.set _Z6kernelI4downaLj256ELj3ELj100EEvPKT0_PS1_.private_seg_size, 0
	.set _Z6kernelI4downaLj256ELj3ELj100EEvPKT0_PS1_.uses_vcc, 1
	.set _Z6kernelI4downaLj256ELj3ELj100EEvPKT0_PS1_.uses_flat_scratch, 0
	.set _Z6kernelI4downaLj256ELj3ELj100EEvPKT0_PS1_.has_dyn_sized_stack, 0
	.set _Z6kernelI4downaLj256ELj3ELj100EEvPKT0_PS1_.has_recursion, 0
	.set _Z6kernelI4downaLj256ELj3ELj100EEvPKT0_PS1_.has_indirect_call, 0
	.section	.AMDGPU.csdata,"",@progbits
; Kernel info:
; codeLenInByte = 436
; TotalNumSgprs: 9
; NumVgprs: 10
; ScratchSize: 0
; MemoryBound: 0
; FloatMode: 240
; IeeeMode: 1
; LDSByteSize: 256 bytes/workgroup (compile time only)
; SGPRBlocks: 0
; VGPRBlocks: 0
; NumSGPRsForWavesPerEU: 9
; NumVGPRsForWavesPerEU: 10
; NamedBarCnt: 0
; Occupancy: 16
; WaveLimiterHint : 0
; COMPUTE_PGM_RSRC2:SCRATCH_EN: 0
; COMPUTE_PGM_RSRC2:USER_SGPR: 2
; COMPUTE_PGM_RSRC2:TRAP_HANDLER: 0
; COMPUTE_PGM_RSRC2:TGID_X_EN: 1
; COMPUTE_PGM_RSRC2:TGID_Y_EN: 0
; COMPUTE_PGM_RSRC2:TGID_Z_EN: 0
; COMPUTE_PGM_RSRC2:TIDIG_COMP_CNT: 0
	.section	.text._Z6kernelI4downaLj256ELj4ELj100EEvPKT0_PS1_,"axG",@progbits,_Z6kernelI4downaLj256ELj4ELj100EEvPKT0_PS1_,comdat
	.protected	_Z6kernelI4downaLj256ELj4ELj100EEvPKT0_PS1_ ; -- Begin function _Z6kernelI4downaLj256ELj4ELj100EEvPKT0_PS1_
	.globl	_Z6kernelI4downaLj256ELj4ELj100EEvPKT0_PS1_
	.p2align	8
	.type	_Z6kernelI4downaLj256ELj4ELj100EEvPKT0_PS1_,@function
_Z6kernelI4downaLj256ELj4ELj100EEvPKT0_PS1_: ; @_Z6kernelI4downaLj256ELj4ELj100EEvPKT0_PS1_
; %bb.0:
	s_load_b128 s[0:3], s[0:1], 0x0
	s_bfe_u32 s4, ttmp6, 0x4000c
	s_and_b32 s5, ttmp6, 15
	s_add_co_i32 s4, s4, 1
	s_getreg_b32 s6, hwreg(HW_REG_IB_STS2, 6, 4)
	s_mul_i32 s4, ttmp9, s4
	v_dual_lshlrev_b32 v1, 2, v0 :: v_dual_mov_b32 v3, 0
	s_add_co_i32 s5, s5, s4
	s_cmp_eq_u32 s6, 0
	v_cmp_gt_u32_e32 vcc_lo, 0xff, v0
	s_cselect_b32 s4, ttmp9, s5
	s_delay_alu instid0(SALU_CYCLE_1)
	v_lshl_or_b32 v2, s4, 10, v1
	s_wait_kmcnt 0x0
	global_load_b32 v1, v2, s[0:1]
	s_wait_xcnt 0x0
	s_movk_i32 s0, 0x64
	s_branch .LBB76_2
.LBB76_1:                               ;   in Loop: Header=BB76_2 Depth=1
	s_or_b32 exec_lo, exec_lo, s1
	s_add_co_i32 s0, s0, -1
	s_delay_alu instid0(SALU_CYCLE_1)
	s_cmp_lg_u32 s0, 0
	s_barrier_signal -1
	s_barrier_wait -1
	s_cbranch_scc0 .LBB76_4
.LBB76_2:                               ; =>This Inner Loop Header: Depth=1
	s_wait_loadcnt 0x0
	ds_store_b8 v0, v1
	v_perm_b32 v1, v1, v1, 0x7070605
	s_wait_dscnt 0x0
	s_barrier_signal -1
	s_barrier_wait -1
	s_and_saveexec_b32 s1, vcc_lo
	s_cbranch_execz .LBB76_1
; %bb.3:                                ;   in Loop: Header=BB76_2 Depth=1
	ds_load_u8 v4, v0 offset:1
	s_wait_dscnt 0x0
	v_perm_b32 v1, v1, v4, 0x60504
	s_branch .LBB76_1
.LBB76_4:
	v_add_nc_u64_e32 v[2:3], s[2:3], v[2:3]
	global_store_b32 v[2:3], v1, off
	s_endpgm
	.section	.rodata,"a",@progbits
	.p2align	6, 0x0
	.amdhsa_kernel _Z6kernelI4downaLj256ELj4ELj100EEvPKT0_PS1_
		.amdhsa_group_segment_fixed_size 256
		.amdhsa_private_segment_fixed_size 0
		.amdhsa_kernarg_size 16
		.amdhsa_user_sgpr_count 2
		.amdhsa_user_sgpr_dispatch_ptr 0
		.amdhsa_user_sgpr_queue_ptr 0
		.amdhsa_user_sgpr_kernarg_segment_ptr 1
		.amdhsa_user_sgpr_dispatch_id 0
		.amdhsa_user_sgpr_kernarg_preload_length 0
		.amdhsa_user_sgpr_kernarg_preload_offset 0
		.amdhsa_user_sgpr_private_segment_size 0
		.amdhsa_wavefront_size32 1
		.amdhsa_uses_dynamic_stack 0
		.amdhsa_enable_private_segment 0
		.amdhsa_system_sgpr_workgroup_id_x 1
		.amdhsa_system_sgpr_workgroup_id_y 0
		.amdhsa_system_sgpr_workgroup_id_z 0
		.amdhsa_system_sgpr_workgroup_info 0
		.amdhsa_system_vgpr_workitem_id 0
		.amdhsa_next_free_vgpr 5
		.amdhsa_next_free_sgpr 7
		.amdhsa_named_barrier_count 0
		.amdhsa_reserve_vcc 1
		.amdhsa_float_round_mode_32 0
		.amdhsa_float_round_mode_16_64 0
		.amdhsa_float_denorm_mode_32 3
		.amdhsa_float_denorm_mode_16_64 3
		.amdhsa_fp16_overflow 0
		.amdhsa_memory_ordered 1
		.amdhsa_forward_progress 1
		.amdhsa_inst_pref_size 2
		.amdhsa_round_robin_scheduling 0
		.amdhsa_exception_fp_ieee_invalid_op 0
		.amdhsa_exception_fp_denorm_src 0
		.amdhsa_exception_fp_ieee_div_zero 0
		.amdhsa_exception_fp_ieee_overflow 0
		.amdhsa_exception_fp_ieee_underflow 0
		.amdhsa_exception_fp_ieee_inexact 0
		.amdhsa_exception_int_div_zero 0
	.end_amdhsa_kernel
	.section	.text._Z6kernelI4downaLj256ELj4ELj100EEvPKT0_PS1_,"axG",@progbits,_Z6kernelI4downaLj256ELj4ELj100EEvPKT0_PS1_,comdat
.Lfunc_end76:
	.size	_Z6kernelI4downaLj256ELj4ELj100EEvPKT0_PS1_, .Lfunc_end76-_Z6kernelI4downaLj256ELj4ELj100EEvPKT0_PS1_
                                        ; -- End function
	.set _Z6kernelI4downaLj256ELj4ELj100EEvPKT0_PS1_.num_vgpr, 5
	.set _Z6kernelI4downaLj256ELj4ELj100EEvPKT0_PS1_.num_agpr, 0
	.set _Z6kernelI4downaLj256ELj4ELj100EEvPKT0_PS1_.numbered_sgpr, 7
	.set _Z6kernelI4downaLj256ELj4ELj100EEvPKT0_PS1_.num_named_barrier, 0
	.set _Z6kernelI4downaLj256ELj4ELj100EEvPKT0_PS1_.private_seg_size, 0
	.set _Z6kernelI4downaLj256ELj4ELj100EEvPKT0_PS1_.uses_vcc, 1
	.set _Z6kernelI4downaLj256ELj4ELj100EEvPKT0_PS1_.uses_flat_scratch, 0
	.set _Z6kernelI4downaLj256ELj4ELj100EEvPKT0_PS1_.has_dyn_sized_stack, 0
	.set _Z6kernelI4downaLj256ELj4ELj100EEvPKT0_PS1_.has_recursion, 0
	.set _Z6kernelI4downaLj256ELj4ELj100EEvPKT0_PS1_.has_indirect_call, 0
	.section	.AMDGPU.csdata,"",@progbits
; Kernel info:
; codeLenInByte = 224
; TotalNumSgprs: 9
; NumVgprs: 5
; ScratchSize: 0
; MemoryBound: 0
; FloatMode: 240
; IeeeMode: 1
; LDSByteSize: 256 bytes/workgroup (compile time only)
; SGPRBlocks: 0
; VGPRBlocks: 0
; NumSGPRsForWavesPerEU: 9
; NumVGPRsForWavesPerEU: 5
; NamedBarCnt: 0
; Occupancy: 16
; WaveLimiterHint : 0
; COMPUTE_PGM_RSRC2:SCRATCH_EN: 0
; COMPUTE_PGM_RSRC2:USER_SGPR: 2
; COMPUTE_PGM_RSRC2:TRAP_HANDLER: 0
; COMPUTE_PGM_RSRC2:TGID_X_EN: 1
; COMPUTE_PGM_RSRC2:TGID_Y_EN: 0
; COMPUTE_PGM_RSRC2:TGID_Z_EN: 0
; COMPUTE_PGM_RSRC2:TIDIG_COMP_CNT: 0
	.section	.text._Z6kernelI4downaLj256ELj8ELj100EEvPKT0_PS1_,"axG",@progbits,_Z6kernelI4downaLj256ELj8ELj100EEvPKT0_PS1_,comdat
	.protected	_Z6kernelI4downaLj256ELj8ELj100EEvPKT0_PS1_ ; -- Begin function _Z6kernelI4downaLj256ELj8ELj100EEvPKT0_PS1_
	.globl	_Z6kernelI4downaLj256ELj8ELj100EEvPKT0_PS1_
	.p2align	8
	.type	_Z6kernelI4downaLj256ELj8ELj100EEvPKT0_PS1_,@function
_Z6kernelI4downaLj256ELj8ELj100EEvPKT0_PS1_: ; @_Z6kernelI4downaLj256ELj8ELj100EEvPKT0_PS1_
; %bb.0:
	s_load_b128 s[0:3], s[0:1], 0x0
	s_bfe_u32 s4, ttmp6, 0x4000c
	s_and_b32 s5, ttmp6, 15
	s_add_co_i32 s4, s4, 1
	s_getreg_b32 s6, hwreg(HW_REG_IB_STS2, 6, 4)
	s_mul_i32 s4, ttmp9, s4
	v_dual_lshlrev_b32 v1, 3, v0 :: v_dual_mov_b32 v3, 0
	s_add_co_i32 s5, s5, s4
	s_cmp_eq_u32 s6, 0
	v_cmp_gt_u32_e32 vcc_lo, 0xff, v0
	s_cselect_b32 s4, ttmp9, s5
	s_delay_alu instid0(SALU_CYCLE_1)
	v_lshl_or_b32 v2, s4, 11, v1
	s_wait_kmcnt 0x0
	global_load_b64 v[4:5], v2, s[0:1]
	s_wait_xcnt 0x0
	s_movk_i32 s0, 0x64
	s_branch .LBB77_2
.LBB77_1:                               ;   in Loop: Header=BB77_2 Depth=1
	s_or_b32 exec_lo, exec_lo, s1
	s_add_co_i32 s0, s0, -1
	s_delay_alu instid0(SALU_CYCLE_1)
	s_cmp_lg_u32 s0, 0
	s_barrier_signal -1
	s_barrier_wait -1
	s_cbranch_scc0 .LBB77_4
.LBB77_2:                               ; =>This Inner Loop Header: Depth=1
	s_wait_loadcnt 0x0
	ds_store_b8 v0, v4
	v_perm_b32 v4, v4, v5, 0x70605
	v_perm_b32 v5, v5, v5, 0x7070605
	s_wait_dscnt 0x0
	s_barrier_signal -1
	s_barrier_wait -1
	s_and_saveexec_b32 s1, vcc_lo
	s_cbranch_execz .LBB77_1
; %bb.3:                                ;   in Loop: Header=BB77_2 Depth=1
	ds_load_u8 v1, v0 offset:1
	v_perm_b32 v4, v4, v4, 0x3020104
	s_wait_dscnt 0x0
	v_perm_b32 v5, v5, v1, 0x60504
	s_branch .LBB77_1
.LBB77_4:
	v_add_nc_u64_e32 v[0:1], s[2:3], v[2:3]
	global_store_b64 v[0:1], v[4:5], off
	s_endpgm
	.section	.rodata,"a",@progbits
	.p2align	6, 0x0
	.amdhsa_kernel _Z6kernelI4downaLj256ELj8ELj100EEvPKT0_PS1_
		.amdhsa_group_segment_fixed_size 256
		.amdhsa_private_segment_fixed_size 0
		.amdhsa_kernarg_size 16
		.amdhsa_user_sgpr_count 2
		.amdhsa_user_sgpr_dispatch_ptr 0
		.amdhsa_user_sgpr_queue_ptr 0
		.amdhsa_user_sgpr_kernarg_segment_ptr 1
		.amdhsa_user_sgpr_dispatch_id 0
		.amdhsa_user_sgpr_kernarg_preload_length 0
		.amdhsa_user_sgpr_kernarg_preload_offset 0
		.amdhsa_user_sgpr_private_segment_size 0
		.amdhsa_wavefront_size32 1
		.amdhsa_uses_dynamic_stack 0
		.amdhsa_enable_private_segment 0
		.amdhsa_system_sgpr_workgroup_id_x 1
		.amdhsa_system_sgpr_workgroup_id_y 0
		.amdhsa_system_sgpr_workgroup_id_z 0
		.amdhsa_system_sgpr_workgroup_info 0
		.amdhsa_system_vgpr_workitem_id 0
		.amdhsa_next_free_vgpr 6
		.amdhsa_next_free_sgpr 7
		.amdhsa_named_barrier_count 0
		.amdhsa_reserve_vcc 1
		.amdhsa_float_round_mode_32 0
		.amdhsa_float_round_mode_16_64 0
		.amdhsa_float_denorm_mode_32 3
		.amdhsa_float_denorm_mode_16_64 3
		.amdhsa_fp16_overflow 0
		.amdhsa_memory_ordered 1
		.amdhsa_forward_progress 1
		.amdhsa_inst_pref_size 2
		.amdhsa_round_robin_scheduling 0
		.amdhsa_exception_fp_ieee_invalid_op 0
		.amdhsa_exception_fp_denorm_src 0
		.amdhsa_exception_fp_ieee_div_zero 0
		.amdhsa_exception_fp_ieee_overflow 0
		.amdhsa_exception_fp_ieee_underflow 0
		.amdhsa_exception_fp_ieee_inexact 0
		.amdhsa_exception_int_div_zero 0
	.end_amdhsa_kernel
	.section	.text._Z6kernelI4downaLj256ELj8ELj100EEvPKT0_PS1_,"axG",@progbits,_Z6kernelI4downaLj256ELj8ELj100EEvPKT0_PS1_,comdat
.Lfunc_end77:
	.size	_Z6kernelI4downaLj256ELj8ELj100EEvPKT0_PS1_, .Lfunc_end77-_Z6kernelI4downaLj256ELj8ELj100EEvPKT0_PS1_
                                        ; -- End function
	.set _Z6kernelI4downaLj256ELj8ELj100EEvPKT0_PS1_.num_vgpr, 6
	.set _Z6kernelI4downaLj256ELj8ELj100EEvPKT0_PS1_.num_agpr, 0
	.set _Z6kernelI4downaLj256ELj8ELj100EEvPKT0_PS1_.numbered_sgpr, 7
	.set _Z6kernelI4downaLj256ELj8ELj100EEvPKT0_PS1_.num_named_barrier, 0
	.set _Z6kernelI4downaLj256ELj8ELj100EEvPKT0_PS1_.private_seg_size, 0
	.set _Z6kernelI4downaLj256ELj8ELj100EEvPKT0_PS1_.uses_vcc, 1
	.set _Z6kernelI4downaLj256ELj8ELj100EEvPKT0_PS1_.uses_flat_scratch, 0
	.set _Z6kernelI4downaLj256ELj8ELj100EEvPKT0_PS1_.has_dyn_sized_stack, 0
	.set _Z6kernelI4downaLj256ELj8ELj100EEvPKT0_PS1_.has_recursion, 0
	.set _Z6kernelI4downaLj256ELj8ELj100EEvPKT0_PS1_.has_indirect_call, 0
	.section	.AMDGPU.csdata,"",@progbits
; Kernel info:
; codeLenInByte = 248
; TotalNumSgprs: 9
; NumVgprs: 6
; ScratchSize: 0
; MemoryBound: 0
; FloatMode: 240
; IeeeMode: 1
; LDSByteSize: 256 bytes/workgroup (compile time only)
; SGPRBlocks: 0
; VGPRBlocks: 0
; NumSGPRsForWavesPerEU: 9
; NumVGPRsForWavesPerEU: 6
; NamedBarCnt: 0
; Occupancy: 16
; WaveLimiterHint : 0
; COMPUTE_PGM_RSRC2:SCRATCH_EN: 0
; COMPUTE_PGM_RSRC2:USER_SGPR: 2
; COMPUTE_PGM_RSRC2:TRAP_HANDLER: 0
; COMPUTE_PGM_RSRC2:TGID_X_EN: 1
; COMPUTE_PGM_RSRC2:TGID_Y_EN: 0
; COMPUTE_PGM_RSRC2:TGID_Z_EN: 0
; COMPUTE_PGM_RSRC2:TIDIG_COMP_CNT: 0
	.section	.text._Z6kernelI4downaLj256ELj16ELj100EEvPKT0_PS1_,"axG",@progbits,_Z6kernelI4downaLj256ELj16ELj100EEvPKT0_PS1_,comdat
	.protected	_Z6kernelI4downaLj256ELj16ELj100EEvPKT0_PS1_ ; -- Begin function _Z6kernelI4downaLj256ELj16ELj100EEvPKT0_PS1_
	.globl	_Z6kernelI4downaLj256ELj16ELj100EEvPKT0_PS1_
	.p2align	8
	.type	_Z6kernelI4downaLj256ELj16ELj100EEvPKT0_PS1_,@function
_Z6kernelI4downaLj256ELj16ELj100EEvPKT0_PS1_: ; @_Z6kernelI4downaLj256ELj16ELj100EEvPKT0_PS1_
; %bb.0:
	s_load_b128 s[0:3], s[0:1], 0x0
	s_bfe_u32 s4, ttmp6, 0x4000c
	s_and_b32 s5, ttmp6, 15
	s_add_co_i32 s4, s4, 1
	s_getreg_b32 s6, hwreg(HW_REG_IB_STS2, 6, 4)
	s_mul_i32 s4, ttmp9, s4
	v_dual_lshlrev_b32 v1, 4, v0 :: v_dual_mov_b32 v7, 0
	s_add_co_i32 s5, s5, s4
	s_cmp_eq_u32 s6, 0
	v_cmp_gt_u32_e32 vcc_lo, 0xff, v0
	s_cselect_b32 s4, ttmp9, s5
	s_delay_alu instid0(SALU_CYCLE_1)
	v_lshl_or_b32 v6, s4, 12, v1
	s_wait_kmcnt 0x0
	global_load_b128 v[2:5], v6, s[0:1]
	s_wait_xcnt 0x0
	s_movk_i32 s0, 0x64
	s_branch .LBB78_2
.LBB78_1:                               ;   in Loop: Header=BB78_2 Depth=1
	s_or_b32 exec_lo, exec_lo, s1
	v_dual_mov_b32 v3, v8 :: v_dual_mov_b32 v4, v1
	s_add_co_i32 s0, s0, -1
	s_delay_alu instid0(SALU_CYCLE_1)
	s_cmp_lg_u32 s0, 0
	s_barrier_signal -1
	s_barrier_wait -1
	s_cbranch_scc0 .LBB78_4
.LBB78_2:                               ; =>This Inner Loop Header: Depth=1
	s_wait_loadcnt 0x0
	ds_store_b8 v0, v2
	v_perm_b32 v1, v4, v5, 0x70605
	v_perm_b32 v8, v3, v4, 0x70605
	;; [unrolled: 1-line block ×4, first 2 shown]
	s_wait_dscnt 0x0
	s_barrier_signal -1
	s_barrier_wait -1
	s_and_saveexec_b32 s1, vcc_lo
	s_cbranch_execz .LBB78_1
; %bb.3:                                ;   in Loop: Header=BB78_2 Depth=1
	ds_load_u8 v3, v0 offset:1
	s_wait_dscnt 0x0
	v_perm_b32 v5, v5, v3, 0x60504
	s_branch .LBB78_1
.LBB78_4:
	v_add_nc_u64_e32 v[6:7], s[2:3], v[6:7]
	v_dual_mov_b32 v3, v8 :: v_dual_mov_b32 v4, v1
	global_store_b128 v[6:7], v[2:5], off
	s_endpgm
	.section	.rodata,"a",@progbits
	.p2align	6, 0x0
	.amdhsa_kernel _Z6kernelI4downaLj256ELj16ELj100EEvPKT0_PS1_
		.amdhsa_group_segment_fixed_size 256
		.amdhsa_private_segment_fixed_size 0
		.amdhsa_kernarg_size 16
		.amdhsa_user_sgpr_count 2
		.amdhsa_user_sgpr_dispatch_ptr 0
		.amdhsa_user_sgpr_queue_ptr 0
		.amdhsa_user_sgpr_kernarg_segment_ptr 1
		.amdhsa_user_sgpr_dispatch_id 0
		.amdhsa_user_sgpr_kernarg_preload_length 0
		.amdhsa_user_sgpr_kernarg_preload_offset 0
		.amdhsa_user_sgpr_private_segment_size 0
		.amdhsa_wavefront_size32 1
		.amdhsa_uses_dynamic_stack 0
		.amdhsa_enable_private_segment 0
		.amdhsa_system_sgpr_workgroup_id_x 1
		.amdhsa_system_sgpr_workgroup_id_y 0
		.amdhsa_system_sgpr_workgroup_id_z 0
		.amdhsa_system_sgpr_workgroup_info 0
		.amdhsa_system_vgpr_workitem_id 0
		.amdhsa_next_free_vgpr 9
		.amdhsa_next_free_sgpr 7
		.amdhsa_named_barrier_count 0
		.amdhsa_reserve_vcc 1
		.amdhsa_float_round_mode_32 0
		.amdhsa_float_round_mode_16_64 0
		.amdhsa_float_denorm_mode_32 3
		.amdhsa_float_denorm_mode_16_64 3
		.amdhsa_fp16_overflow 0
		.amdhsa_memory_ordered 1
		.amdhsa_forward_progress 1
		.amdhsa_inst_pref_size 3
		.amdhsa_round_robin_scheduling 0
		.amdhsa_exception_fp_ieee_invalid_op 0
		.amdhsa_exception_fp_denorm_src 0
		.amdhsa_exception_fp_ieee_div_zero 0
		.amdhsa_exception_fp_ieee_overflow 0
		.amdhsa_exception_fp_ieee_underflow 0
		.amdhsa_exception_fp_ieee_inexact 0
		.amdhsa_exception_int_div_zero 0
	.end_amdhsa_kernel
	.section	.text._Z6kernelI4downaLj256ELj16ELj100EEvPKT0_PS1_,"axG",@progbits,_Z6kernelI4downaLj256ELj16ELj100EEvPKT0_PS1_,comdat
.Lfunc_end78:
	.size	_Z6kernelI4downaLj256ELj16ELj100EEvPKT0_PS1_, .Lfunc_end78-_Z6kernelI4downaLj256ELj16ELj100EEvPKT0_PS1_
                                        ; -- End function
	.set _Z6kernelI4downaLj256ELj16ELj100EEvPKT0_PS1_.num_vgpr, 9
	.set _Z6kernelI4downaLj256ELj16ELj100EEvPKT0_PS1_.num_agpr, 0
	.set _Z6kernelI4downaLj256ELj16ELj100EEvPKT0_PS1_.numbered_sgpr, 7
	.set _Z6kernelI4downaLj256ELj16ELj100EEvPKT0_PS1_.num_named_barrier, 0
	.set _Z6kernelI4downaLj256ELj16ELj100EEvPKT0_PS1_.private_seg_size, 0
	.set _Z6kernelI4downaLj256ELj16ELj100EEvPKT0_PS1_.uses_vcc, 1
	.set _Z6kernelI4downaLj256ELj16ELj100EEvPKT0_PS1_.uses_flat_scratch, 0
	.set _Z6kernelI4downaLj256ELj16ELj100EEvPKT0_PS1_.has_dyn_sized_stack, 0
	.set _Z6kernelI4downaLj256ELj16ELj100EEvPKT0_PS1_.has_recursion, 0
	.set _Z6kernelI4downaLj256ELj16ELj100EEvPKT0_PS1_.has_indirect_call, 0
	.section	.AMDGPU.csdata,"",@progbits
; Kernel info:
; codeLenInByte = 276
; TotalNumSgprs: 9
; NumVgprs: 9
; ScratchSize: 0
; MemoryBound: 0
; FloatMode: 240
; IeeeMode: 1
; LDSByteSize: 256 bytes/workgroup (compile time only)
; SGPRBlocks: 0
; VGPRBlocks: 0
; NumSGPRsForWavesPerEU: 9
; NumVGPRsForWavesPerEU: 9
; NamedBarCnt: 0
; Occupancy: 16
; WaveLimiterHint : 0
; COMPUTE_PGM_RSRC2:SCRATCH_EN: 0
; COMPUTE_PGM_RSRC2:USER_SGPR: 2
; COMPUTE_PGM_RSRC2:TRAP_HANDLER: 0
; COMPUTE_PGM_RSRC2:TGID_X_EN: 1
; COMPUTE_PGM_RSRC2:TGID_Y_EN: 0
; COMPUTE_PGM_RSRC2:TGID_Z_EN: 0
; COMPUTE_PGM_RSRC2:TIDIG_COMP_CNT: 0
	.section	.text._Z6kernelI4downaLj256ELj32ELj100EEvPKT0_PS1_,"axG",@progbits,_Z6kernelI4downaLj256ELj32ELj100EEvPKT0_PS1_,comdat
	.protected	_Z6kernelI4downaLj256ELj32ELj100EEvPKT0_PS1_ ; -- Begin function _Z6kernelI4downaLj256ELj32ELj100EEvPKT0_PS1_
	.globl	_Z6kernelI4downaLj256ELj32ELj100EEvPKT0_PS1_
	.p2align	8
	.type	_Z6kernelI4downaLj256ELj32ELj100EEvPKT0_PS1_,@function
_Z6kernelI4downaLj256ELj32ELj100EEvPKT0_PS1_: ; @_Z6kernelI4downaLj256ELj32ELj100EEvPKT0_PS1_
; %bb.0:
	s_load_b128 s[0:3], s[0:1], 0x0
	s_bfe_u32 s4, ttmp6, 0x4000c
	s_and_b32 s5, ttmp6, 15
	s_add_co_i32 s4, s4, 1
	s_getreg_b32 s6, hwreg(HW_REG_IB_STS2, 6, 4)
	s_mul_i32 s4, ttmp9, s4
	v_dual_lshlrev_b32 v1, 5, v0 :: v_dual_mov_b32 v15, 0
	s_add_co_i32 s5, s5, s4
	s_cmp_eq_u32 s6, 0
	v_cmp_gt_u32_e32 vcc_lo, 0xff, v0
	s_cselect_b32 s4, ttmp9, s5
	s_delay_alu instid0(SALU_CYCLE_1)
	v_lshl_or_b32 v14, s4, 13, v1
	s_wait_kmcnt 0x0
	s_clause 0x1
	global_load_b128 v[2:5], v14, s[0:1]
	global_load_b128 v[6:9], v14, s[0:1] offset:16
	s_wait_xcnt 0x0
	s_movk_i32 s0, 0x64
	s_branch .LBB79_2
.LBB79_1:                               ;   in Loop: Header=BB79_2 Depth=1
	s_or_b32 exec_lo, exec_lo, s1
	v_dual_mov_b32 v3, v16 :: v_dual_mov_b32 v4, v13
	v_dual_mov_b32 v5, v1 :: v_dual_mov_b32 v6, v10
	;; [unrolled: 1-line block ×3, first 2 shown]
	s_add_co_i32 s0, s0, -1
	s_delay_alu instid0(SALU_CYCLE_1)
	s_cmp_lg_u32 s0, 0
	s_barrier_signal -1
	s_barrier_wait -1
	s_cbranch_scc0 .LBB79_4
.LBB79_2:                               ; =>This Inner Loop Header: Depth=1
	s_wait_loadcnt 0x1
	ds_store_b8 v0, v2
	s_wait_loadcnt 0x0
	v_perm_b32 v12, v8, v9, 0x70605
	v_perm_b32 v11, v7, v8, 0x70605
	;; [unrolled: 1-line block ×8, first 2 shown]
	s_wait_dscnt 0x0
	s_barrier_signal -1
	s_barrier_wait -1
	s_and_saveexec_b32 s1, vcc_lo
	s_cbranch_execz .LBB79_1
; %bb.3:                                ;   in Loop: Header=BB79_2 Depth=1
	ds_load_u8 v3, v0 offset:1
	s_wait_dscnt 0x0
	v_perm_b32 v9, v9, v3, 0x60504
	s_branch .LBB79_1
.LBB79_4:
	v_add_nc_u64_e32 v[6:7], s[2:3], v[14:15]
	v_dual_mov_b32 v3, v16 :: v_dual_mov_b32 v4, v13
	v_dual_mov_b32 v5, v1 :: v_dual_mov_b32 v13, v9
	s_clause 0x1
	global_store_b128 v[6:7], v[2:5], off
	global_store_b128 v[6:7], v[10:13], off offset:16
	s_endpgm
	.section	.rodata,"a",@progbits
	.p2align	6, 0x0
	.amdhsa_kernel _Z6kernelI4downaLj256ELj32ELj100EEvPKT0_PS1_
		.amdhsa_group_segment_fixed_size 256
		.amdhsa_private_segment_fixed_size 0
		.amdhsa_kernarg_size 16
		.amdhsa_user_sgpr_count 2
		.amdhsa_user_sgpr_dispatch_ptr 0
		.amdhsa_user_sgpr_queue_ptr 0
		.amdhsa_user_sgpr_kernarg_segment_ptr 1
		.amdhsa_user_sgpr_dispatch_id 0
		.amdhsa_user_sgpr_kernarg_preload_length 0
		.amdhsa_user_sgpr_kernarg_preload_offset 0
		.amdhsa_user_sgpr_private_segment_size 0
		.amdhsa_wavefront_size32 1
		.amdhsa_uses_dynamic_stack 0
		.amdhsa_enable_private_segment 0
		.amdhsa_system_sgpr_workgroup_id_x 1
		.amdhsa_system_sgpr_workgroup_id_y 0
		.amdhsa_system_sgpr_workgroup_id_z 0
		.amdhsa_system_sgpr_workgroup_info 0
		.amdhsa_system_vgpr_workitem_id 0
		.amdhsa_next_free_vgpr 17
		.amdhsa_next_free_sgpr 7
		.amdhsa_named_barrier_count 0
		.amdhsa_reserve_vcc 1
		.amdhsa_float_round_mode_32 0
		.amdhsa_float_round_mode_16_64 0
		.amdhsa_float_denorm_mode_32 3
		.amdhsa_float_denorm_mode_16_64 3
		.amdhsa_fp16_overflow 0
		.amdhsa_memory_ordered 1
		.amdhsa_forward_progress 1
		.amdhsa_inst_pref_size 4
		.amdhsa_round_robin_scheduling 0
		.amdhsa_exception_fp_ieee_invalid_op 0
		.amdhsa_exception_fp_denorm_src 0
		.amdhsa_exception_fp_ieee_div_zero 0
		.amdhsa_exception_fp_ieee_overflow 0
		.amdhsa_exception_fp_ieee_underflow 0
		.amdhsa_exception_fp_ieee_inexact 0
		.amdhsa_exception_int_div_zero 0
	.end_amdhsa_kernel
	.section	.text._Z6kernelI4downaLj256ELj32ELj100EEvPKT0_PS1_,"axG",@progbits,_Z6kernelI4downaLj256ELj32ELj100EEvPKT0_PS1_,comdat
.Lfunc_end79:
	.size	_Z6kernelI4downaLj256ELj32ELj100EEvPKT0_PS1_, .Lfunc_end79-_Z6kernelI4downaLj256ELj32ELj100EEvPKT0_PS1_
                                        ; -- End function
	.set _Z6kernelI4downaLj256ELj32ELj100EEvPKT0_PS1_.num_vgpr, 17
	.set _Z6kernelI4downaLj256ELj32ELj100EEvPKT0_PS1_.num_agpr, 0
	.set _Z6kernelI4downaLj256ELj32ELj100EEvPKT0_PS1_.numbered_sgpr, 7
	.set _Z6kernelI4downaLj256ELj32ELj100EEvPKT0_PS1_.num_named_barrier, 0
	.set _Z6kernelI4downaLj256ELj32ELj100EEvPKT0_PS1_.private_seg_size, 0
	.set _Z6kernelI4downaLj256ELj32ELj100EEvPKT0_PS1_.uses_vcc, 1
	.set _Z6kernelI4downaLj256ELj32ELj100EEvPKT0_PS1_.uses_flat_scratch, 0
	.set _Z6kernelI4downaLj256ELj32ELj100EEvPKT0_PS1_.has_dyn_sized_stack, 0
	.set _Z6kernelI4downaLj256ELj32ELj100EEvPKT0_PS1_.has_recursion, 0
	.set _Z6kernelI4downaLj256ELj32ELj100EEvPKT0_PS1_.has_indirect_call, 0
	.section	.AMDGPU.csdata,"",@progbits
; Kernel info:
; codeLenInByte = 388
; TotalNumSgprs: 9
; NumVgprs: 17
; ScratchSize: 0
; MemoryBound: 0
; FloatMode: 240
; IeeeMode: 1
; LDSByteSize: 256 bytes/workgroup (compile time only)
; SGPRBlocks: 0
; VGPRBlocks: 1
; NumSGPRsForWavesPerEU: 9
; NumVGPRsForWavesPerEU: 17
; NamedBarCnt: 0
; Occupancy: 16
; WaveLimiterHint : 0
; COMPUTE_PGM_RSRC2:SCRATCH_EN: 0
; COMPUTE_PGM_RSRC2:USER_SGPR: 2
; COMPUTE_PGM_RSRC2:TRAP_HANDLER: 0
; COMPUTE_PGM_RSRC2:TGID_X_EN: 1
; COMPUTE_PGM_RSRC2:TGID_Y_EN: 0
; COMPUTE_PGM_RSRC2:TGID_Z_EN: 0
; COMPUTE_PGM_RSRC2:TIDIG_COMP_CNT: 0
	.section	.text._Z6kernelI4downxLj256ELj1ELj100EEvPKT0_PS1_,"axG",@progbits,_Z6kernelI4downxLj256ELj1ELj100EEvPKT0_PS1_,comdat
	.protected	_Z6kernelI4downxLj256ELj1ELj100EEvPKT0_PS1_ ; -- Begin function _Z6kernelI4downxLj256ELj1ELj100EEvPKT0_PS1_
	.globl	_Z6kernelI4downxLj256ELj1ELj100EEvPKT0_PS1_
	.p2align	8
	.type	_Z6kernelI4downxLj256ELj1ELj100EEvPKT0_PS1_,@function
_Z6kernelI4downxLj256ELj1ELj100EEvPKT0_PS1_: ; @_Z6kernelI4downxLj256ELj1ELj100EEvPKT0_PS1_
; %bb.0:
	s_load_b128 s[0:3], s[0:1], 0x0
	s_bfe_u32 s4, ttmp6, 0x4000c
	s_and_b32 s5, ttmp6, 15
	s_add_co_i32 s4, s4, 1
	s_getreg_b32 s6, hwreg(HW_REG_IB_STS2, 6, 4)
	s_mul_i32 s4, ttmp9, s4
	v_dual_mov_b32 v3, 0 :: v_dual_lshlrev_b32 v1, 3, v0
	s_add_co_i32 s5, s5, s4
	s_cmp_eq_u32 s6, 0
	v_cmp_gt_u32_e32 vcc_lo, 0xff, v0
	s_cselect_b32 s4, ttmp9, s5
	s_delay_alu instid0(SALU_CYCLE_1)
	v_lshl_or_b32 v2, s4, 8, v0
	s_wait_kmcnt 0x0
	global_load_b64 v[4:5], v2, s[0:1] scale_offset
	s_wait_xcnt 0x0
	s_movk_i32 s0, 0x64
	s_branch .LBB80_2
.LBB80_1:                               ;   in Loop: Header=BB80_2 Depth=1
	s_or_b32 exec_lo, exec_lo, s1
	s_add_co_i32 s0, s0, -1
	s_wait_dscnt 0x0
	s_cmp_lg_u32 s0, 0
	s_barrier_signal -1
	s_barrier_wait -1
	s_cbranch_scc0 .LBB80_4
.LBB80_2:                               ; =>This Inner Loop Header: Depth=1
	s_wait_loadcnt 0x0
	ds_store_b64 v1, v[4:5]
	s_wait_dscnt 0x0
	s_barrier_signal -1
	s_barrier_wait -1
	s_and_saveexec_b32 s1, vcc_lo
	s_cbranch_execz .LBB80_1
; %bb.3:                                ;   in Loop: Header=BB80_2 Depth=1
	ds_load_b64 v[4:5], v1 offset:8
	s_branch .LBB80_1
.LBB80_4:
	v_lshl_add_u64 v[0:1], v[2:3], 3, s[2:3]
	global_store_b64 v[0:1], v[4:5], off
	s_endpgm
	.section	.rodata,"a",@progbits
	.p2align	6, 0x0
	.amdhsa_kernel _Z6kernelI4downxLj256ELj1ELj100EEvPKT0_PS1_
		.amdhsa_group_segment_fixed_size 2048
		.amdhsa_private_segment_fixed_size 0
		.amdhsa_kernarg_size 16
		.amdhsa_user_sgpr_count 2
		.amdhsa_user_sgpr_dispatch_ptr 0
		.amdhsa_user_sgpr_queue_ptr 0
		.amdhsa_user_sgpr_kernarg_segment_ptr 1
		.amdhsa_user_sgpr_dispatch_id 0
		.amdhsa_user_sgpr_kernarg_preload_length 0
		.amdhsa_user_sgpr_kernarg_preload_offset 0
		.amdhsa_user_sgpr_private_segment_size 0
		.amdhsa_wavefront_size32 1
		.amdhsa_uses_dynamic_stack 0
		.amdhsa_enable_private_segment 0
		.amdhsa_system_sgpr_workgroup_id_x 1
		.amdhsa_system_sgpr_workgroup_id_y 0
		.amdhsa_system_sgpr_workgroup_id_z 0
		.amdhsa_system_sgpr_workgroup_info 0
		.amdhsa_system_vgpr_workitem_id 0
		.amdhsa_next_free_vgpr 6
		.amdhsa_next_free_sgpr 7
		.amdhsa_named_barrier_count 0
		.amdhsa_reserve_vcc 1
		.amdhsa_float_round_mode_32 0
		.amdhsa_float_round_mode_16_64 0
		.amdhsa_float_denorm_mode_32 3
		.amdhsa_float_denorm_mode_16_64 3
		.amdhsa_fp16_overflow 0
		.amdhsa_memory_ordered 1
		.amdhsa_forward_progress 1
		.amdhsa_inst_pref_size 2
		.amdhsa_round_robin_scheduling 0
		.amdhsa_exception_fp_ieee_invalid_op 0
		.amdhsa_exception_fp_denorm_src 0
		.amdhsa_exception_fp_ieee_div_zero 0
		.amdhsa_exception_fp_ieee_overflow 0
		.amdhsa_exception_fp_ieee_underflow 0
		.amdhsa_exception_fp_ieee_inexact 0
		.amdhsa_exception_int_div_zero 0
	.end_amdhsa_kernel
	.section	.text._Z6kernelI4downxLj256ELj1ELj100EEvPKT0_PS1_,"axG",@progbits,_Z6kernelI4downxLj256ELj1ELj100EEvPKT0_PS1_,comdat
.Lfunc_end80:
	.size	_Z6kernelI4downxLj256ELj1ELj100EEvPKT0_PS1_, .Lfunc_end80-_Z6kernelI4downxLj256ELj1ELj100EEvPKT0_PS1_
                                        ; -- End function
	.set _Z6kernelI4downxLj256ELj1ELj100EEvPKT0_PS1_.num_vgpr, 6
	.set _Z6kernelI4downxLj256ELj1ELj100EEvPKT0_PS1_.num_agpr, 0
	.set _Z6kernelI4downxLj256ELj1ELj100EEvPKT0_PS1_.numbered_sgpr, 7
	.set _Z6kernelI4downxLj256ELj1ELj100EEvPKT0_PS1_.num_named_barrier, 0
	.set _Z6kernelI4downxLj256ELj1ELj100EEvPKT0_PS1_.private_seg_size, 0
	.set _Z6kernelI4downxLj256ELj1ELj100EEvPKT0_PS1_.uses_vcc, 1
	.set _Z6kernelI4downxLj256ELj1ELj100EEvPKT0_PS1_.uses_flat_scratch, 0
	.set _Z6kernelI4downxLj256ELj1ELj100EEvPKT0_PS1_.has_dyn_sized_stack, 0
	.set _Z6kernelI4downxLj256ELj1ELj100EEvPKT0_PS1_.has_recursion, 0
	.set _Z6kernelI4downxLj256ELj1ELj100EEvPKT0_PS1_.has_indirect_call, 0
	.section	.AMDGPU.csdata,"",@progbits
; Kernel info:
; codeLenInByte = 200
; TotalNumSgprs: 9
; NumVgprs: 6
; ScratchSize: 0
; MemoryBound: 0
; FloatMode: 240
; IeeeMode: 1
; LDSByteSize: 2048 bytes/workgroup (compile time only)
; SGPRBlocks: 0
; VGPRBlocks: 0
; NumSGPRsForWavesPerEU: 9
; NumVGPRsForWavesPerEU: 6
; NamedBarCnt: 0
; Occupancy: 16
; WaveLimiterHint : 0
; COMPUTE_PGM_RSRC2:SCRATCH_EN: 0
; COMPUTE_PGM_RSRC2:USER_SGPR: 2
; COMPUTE_PGM_RSRC2:TRAP_HANDLER: 0
; COMPUTE_PGM_RSRC2:TGID_X_EN: 1
; COMPUTE_PGM_RSRC2:TGID_Y_EN: 0
; COMPUTE_PGM_RSRC2:TGID_Z_EN: 0
; COMPUTE_PGM_RSRC2:TIDIG_COMP_CNT: 0
	.section	.text._Z6kernelI4downxLj256ELj3ELj100EEvPKT0_PS1_,"axG",@progbits,_Z6kernelI4downxLj256ELj3ELj100EEvPKT0_PS1_,comdat
	.protected	_Z6kernelI4downxLj256ELj3ELj100EEvPKT0_PS1_ ; -- Begin function _Z6kernelI4downxLj256ELj3ELj100EEvPKT0_PS1_
	.globl	_Z6kernelI4downxLj256ELj3ELj100EEvPKT0_PS1_
	.p2align	8
	.type	_Z6kernelI4downxLj256ELj3ELj100EEvPKT0_PS1_,@function
_Z6kernelI4downxLj256ELj3ELj100EEvPKT0_PS1_: ; @_Z6kernelI4downxLj256ELj3ELj100EEvPKT0_PS1_
; %bb.0:
	s_bfe_u32 s4, ttmp6, 0x4000c
	s_and_b32 s5, ttmp6, 15
	s_add_co_i32 s4, s4, 1
	s_getreg_b32 s6, hwreg(HW_REG_IB_STS2, 6, 4)
	s_mul_i32 s4, ttmp9, s4
	s_load_b128 s[0:3], s[0:1], 0x0
	s_add_co_i32 s5, s5, s4
	s_cmp_eq_u32 s6, 0
	v_dual_mov_b32 v3, 0 :: v_dual_lshlrev_b32 v14, 3, v0
	s_cselect_b32 s4, ttmp9, s5
	v_cmp_gt_u32_e32 vcc_lo, 0xff, v0
	v_lshl_or_b32 v1, s4, 8, v0
	s_delay_alu instid0(VALU_DEP_3) | instskip(NEXT) | instid1(VALU_DEP_2)
	v_dual_mov_b32 v7, v3 :: v_dual_mov_b32 v5, v3
	v_lshl_add_u32 v2, v1, 1, v1
	s_delay_alu instid0(VALU_DEP_1)
	v_dual_add_nc_u32 v4, 2, v2 :: v_dual_add_nc_u32 v6, 1, v2
	s_wait_kmcnt 0x0
	s_clause 0x2
	global_load_b64 v[8:9], v4, s[0:1] scale_offset
	global_load_b64 v[12:13], v2, s[0:1] scale_offset
	global_load_b64 v[10:11], v6, s[0:1] scale_offset
	s_wait_xcnt 0x0
	s_movk_i32 s0, 0x64
	s_wait_loadcnt 0x2
	v_mov_b64_e32 v[0:1], v[8:9]
.LBB81_1:                               ; =>This Inner Loop Header: Depth=1
	s_wait_loadcnt 0x1
	ds_store_b64 v14, v[12:13]
	s_wait_loadcnt_dscnt 0x0
	s_barrier_signal -1
	s_barrier_wait -1
	s_and_saveexec_b32 s1, vcc_lo
; %bb.2:                                ;   in Loop: Header=BB81_1 Depth=1
	ds_load_b64 v[0:1], v14 offset:8
; %bb.3:                                ;   in Loop: Header=BB81_1 Depth=1
	s_or_b32 exec_lo, exec_lo, s1
	s_add_co_i32 s0, s0, -1
	s_wait_dscnt 0x0
	s_cmp_lg_u32 s0, 0
	s_barrier_signal -1
	s_barrier_wait -1
	s_cbranch_scc0 .LBB81_5
; %bb.4:                                ;   in Loop: Header=BB81_1 Depth=1
	v_mov_b64_e32 v[12:13], v[10:11]
	v_mov_b64_e32 v[10:11], v[8:9]
	;; [unrolled: 1-line block ×3, first 2 shown]
	s_branch .LBB81_1
.LBB81_5:
	v_lshl_add_u64 v[2:3], v[2:3], 3, s[2:3]
	v_lshl_add_u64 v[6:7], v[6:7], 3, s[2:3]
	;; [unrolled: 1-line block ×3, first 2 shown]
	s_clause 0x2
	global_store_b64 v[2:3], v[10:11], off
	global_store_b64 v[6:7], v[8:9], off
	;; [unrolled: 1-line block ×3, first 2 shown]
	s_endpgm
	.section	.rodata,"a",@progbits
	.p2align	6, 0x0
	.amdhsa_kernel _Z6kernelI4downxLj256ELj3ELj100EEvPKT0_PS1_
		.amdhsa_group_segment_fixed_size 2048
		.amdhsa_private_segment_fixed_size 0
		.amdhsa_kernarg_size 16
		.amdhsa_user_sgpr_count 2
		.amdhsa_user_sgpr_dispatch_ptr 0
		.amdhsa_user_sgpr_queue_ptr 0
		.amdhsa_user_sgpr_kernarg_segment_ptr 1
		.amdhsa_user_sgpr_dispatch_id 0
		.amdhsa_user_sgpr_kernarg_preload_length 0
		.amdhsa_user_sgpr_kernarg_preload_offset 0
		.amdhsa_user_sgpr_private_segment_size 0
		.amdhsa_wavefront_size32 1
		.amdhsa_uses_dynamic_stack 0
		.amdhsa_enable_private_segment 0
		.amdhsa_system_sgpr_workgroup_id_x 1
		.amdhsa_system_sgpr_workgroup_id_y 0
		.amdhsa_system_sgpr_workgroup_id_z 0
		.amdhsa_system_sgpr_workgroup_info 0
		.amdhsa_system_vgpr_workitem_id 0
		.amdhsa_next_free_vgpr 15
		.amdhsa_next_free_sgpr 7
		.amdhsa_named_barrier_count 0
		.amdhsa_reserve_vcc 1
		.amdhsa_float_round_mode_32 0
		.amdhsa_float_round_mode_16_64 0
		.amdhsa_float_denorm_mode_32 3
		.amdhsa_float_denorm_mode_16_64 3
		.amdhsa_fp16_overflow 0
		.amdhsa_memory_ordered 1
		.amdhsa_forward_progress 1
		.amdhsa_inst_pref_size 3
		.amdhsa_round_robin_scheduling 0
		.amdhsa_exception_fp_ieee_invalid_op 0
		.amdhsa_exception_fp_denorm_src 0
		.amdhsa_exception_fp_ieee_div_zero 0
		.amdhsa_exception_fp_ieee_overflow 0
		.amdhsa_exception_fp_ieee_underflow 0
		.amdhsa_exception_fp_ieee_inexact 0
		.amdhsa_exception_int_div_zero 0
	.end_amdhsa_kernel
	.section	.text._Z6kernelI4downxLj256ELj3ELj100EEvPKT0_PS1_,"axG",@progbits,_Z6kernelI4downxLj256ELj3ELj100EEvPKT0_PS1_,comdat
.Lfunc_end81:
	.size	_Z6kernelI4downxLj256ELj3ELj100EEvPKT0_PS1_, .Lfunc_end81-_Z6kernelI4downxLj256ELj3ELj100EEvPKT0_PS1_
                                        ; -- End function
	.set _Z6kernelI4downxLj256ELj3ELj100EEvPKT0_PS1_.num_vgpr, 15
	.set _Z6kernelI4downxLj256ELj3ELj100EEvPKT0_PS1_.num_agpr, 0
	.set _Z6kernelI4downxLj256ELj3ELj100EEvPKT0_PS1_.numbered_sgpr, 7
	.set _Z6kernelI4downxLj256ELj3ELj100EEvPKT0_PS1_.num_named_barrier, 0
	.set _Z6kernelI4downxLj256ELj3ELj100EEvPKT0_PS1_.private_seg_size, 0
	.set _Z6kernelI4downxLj256ELj3ELj100EEvPKT0_PS1_.uses_vcc, 1
	.set _Z6kernelI4downxLj256ELj3ELj100EEvPKT0_PS1_.uses_flat_scratch, 0
	.set _Z6kernelI4downxLj256ELj3ELj100EEvPKT0_PS1_.has_dyn_sized_stack, 0
	.set _Z6kernelI4downxLj256ELj3ELj100EEvPKT0_PS1_.has_recursion, 0
	.set _Z6kernelI4downxLj256ELj3ELj100EEvPKT0_PS1_.has_indirect_call, 0
	.section	.AMDGPU.csdata,"",@progbits
; Kernel info:
; codeLenInByte = 316
; TotalNumSgprs: 9
; NumVgprs: 15
; ScratchSize: 0
; MemoryBound: 0
; FloatMode: 240
; IeeeMode: 1
; LDSByteSize: 2048 bytes/workgroup (compile time only)
; SGPRBlocks: 0
; VGPRBlocks: 0
; NumSGPRsForWavesPerEU: 9
; NumVGPRsForWavesPerEU: 15
; NamedBarCnt: 0
; Occupancy: 16
; WaveLimiterHint : 0
; COMPUTE_PGM_RSRC2:SCRATCH_EN: 0
; COMPUTE_PGM_RSRC2:USER_SGPR: 2
; COMPUTE_PGM_RSRC2:TRAP_HANDLER: 0
; COMPUTE_PGM_RSRC2:TGID_X_EN: 1
; COMPUTE_PGM_RSRC2:TGID_Y_EN: 0
; COMPUTE_PGM_RSRC2:TGID_Z_EN: 0
; COMPUTE_PGM_RSRC2:TIDIG_COMP_CNT: 0
	.section	.text._Z6kernelI4downxLj256ELj4ELj100EEvPKT0_PS1_,"axG",@progbits,_Z6kernelI4downxLj256ELj4ELj100EEvPKT0_PS1_,comdat
	.protected	_Z6kernelI4downxLj256ELj4ELj100EEvPKT0_PS1_ ; -- Begin function _Z6kernelI4downxLj256ELj4ELj100EEvPKT0_PS1_
	.globl	_Z6kernelI4downxLj256ELj4ELj100EEvPKT0_PS1_
	.p2align	8
	.type	_Z6kernelI4downxLj256ELj4ELj100EEvPKT0_PS1_,@function
_Z6kernelI4downxLj256ELj4ELj100EEvPKT0_PS1_: ; @_Z6kernelI4downxLj256ELj4ELj100EEvPKT0_PS1_
; %bb.0:
	s_load_b128 s[0:3], s[0:1], 0x0
	s_bfe_u32 s4, ttmp6, 0x4000c
	s_and_b32 s5, ttmp6, 15
	s_add_co_i32 s4, s4, 1
	s_getreg_b32 s6, hwreg(HW_REG_IB_STS2, 6, 4)
	s_mul_i32 s4, ttmp9, s4
	v_dual_lshlrev_b32 v1, 2, v0 :: v_dual_mov_b32 v13, 0
	s_add_co_i32 s5, s5, s4
	s_cmp_eq_u32 s6, 0
	v_cmp_gt_u32_e32 vcc_lo, 0xff, v0
	s_cselect_b32 s4, ttmp9, s5
	s_delay_alu instid0(SALU_CYCLE_1) | instskip(SKIP_2) | instid1(VALU_DEP_2)
	v_lshl_or_b32 v12, s4, 10, v1
	v_lshlrev_b32_e32 v1, 3, v0
	s_wait_kmcnt 0x0
	v_lshl_add_u64 v[10:11], v[12:13], 3, s[0:1]
	s_movk_i32 s0, 0x64
	s_clause 0x1
	global_load_b128 v[2:5], v[10:11], off offset:16
	global_load_b128 v[6:9], v[10:11], off
.LBB82_1:                               ; =>This Inner Loop Header: Depth=1
	s_wait_loadcnt 0x1
	s_wait_xcnt 0x0
	s_delay_alu instid0(VALU_DEP_1)
	v_mov_b64_e32 v[10:11], v[4:5]
	s_wait_loadcnt 0x0
	ds_store_b64 v1, v[6:7]
	s_wait_dscnt 0x0
	s_barrier_signal -1
	s_barrier_wait -1
	s_and_saveexec_b32 s1, vcc_lo
; %bb.2:                                ;   in Loop: Header=BB82_1 Depth=1
	ds_load_b64 v[10:11], v1 offset:8
; %bb.3:                                ;   in Loop: Header=BB82_1 Depth=1
	s_or_b32 exec_lo, exec_lo, s1
	s_add_co_i32 s0, s0, -1
	s_wait_dscnt 0x0
	s_cmp_lg_u32 s0, 0
	s_barrier_signal -1
	s_barrier_wait -1
	s_cbranch_scc0 .LBB82_5
; %bb.4:                                ;   in Loop: Header=BB82_1 Depth=1
	v_mov_b64_e32 v[6:7], v[8:9]
	v_mov_b64_e32 v[8:9], v[2:3]
	;; [unrolled: 1-line block ×4, first 2 shown]
	s_branch .LBB82_1
.LBB82_5:
	v_lshl_add_u64 v[6:7], v[12:13], 3, s[2:3]
	v_dual_mov_b32 v0, v8 :: v_dual_mov_b32 v1, v9
	v_dual_mov_b32 v8, v4 :: v_dual_mov_b32 v9, v5
	s_clause 0x1
	global_store_b128 v[6:7], v[0:3], off
	global_store_b128 v[6:7], v[8:11], off offset:16
	s_endpgm
	.section	.rodata,"a",@progbits
	.p2align	6, 0x0
	.amdhsa_kernel _Z6kernelI4downxLj256ELj4ELj100EEvPKT0_PS1_
		.amdhsa_group_segment_fixed_size 2048
		.amdhsa_private_segment_fixed_size 0
		.amdhsa_kernarg_size 16
		.amdhsa_user_sgpr_count 2
		.amdhsa_user_sgpr_dispatch_ptr 0
		.amdhsa_user_sgpr_queue_ptr 0
		.amdhsa_user_sgpr_kernarg_segment_ptr 1
		.amdhsa_user_sgpr_dispatch_id 0
		.amdhsa_user_sgpr_kernarg_preload_length 0
		.amdhsa_user_sgpr_kernarg_preload_offset 0
		.amdhsa_user_sgpr_private_segment_size 0
		.amdhsa_wavefront_size32 1
		.amdhsa_uses_dynamic_stack 0
		.amdhsa_enable_private_segment 0
		.amdhsa_system_sgpr_workgroup_id_x 1
		.amdhsa_system_sgpr_workgroup_id_y 0
		.amdhsa_system_sgpr_workgroup_id_z 0
		.amdhsa_system_sgpr_workgroup_info 0
		.amdhsa_system_vgpr_workitem_id 0
		.amdhsa_next_free_vgpr 14
		.amdhsa_next_free_sgpr 7
		.amdhsa_named_barrier_count 0
		.amdhsa_reserve_vcc 1
		.amdhsa_float_round_mode_32 0
		.amdhsa_float_round_mode_16_64 0
		.amdhsa_float_denorm_mode_32 3
		.amdhsa_float_denorm_mode_16_64 3
		.amdhsa_fp16_overflow 0
		.amdhsa_memory_ordered 1
		.amdhsa_forward_progress 1
		.amdhsa_inst_pref_size 3
		.amdhsa_round_robin_scheduling 0
		.amdhsa_exception_fp_ieee_invalid_op 0
		.amdhsa_exception_fp_denorm_src 0
		.amdhsa_exception_fp_ieee_div_zero 0
		.amdhsa_exception_fp_ieee_overflow 0
		.amdhsa_exception_fp_ieee_underflow 0
		.amdhsa_exception_fp_ieee_inexact 0
		.amdhsa_exception_int_div_zero 0
	.end_amdhsa_kernel
	.section	.text._Z6kernelI4downxLj256ELj4ELj100EEvPKT0_PS1_,"axG",@progbits,_Z6kernelI4downxLj256ELj4ELj100EEvPKT0_PS1_,comdat
.Lfunc_end82:
	.size	_Z6kernelI4downxLj256ELj4ELj100EEvPKT0_PS1_, .Lfunc_end82-_Z6kernelI4downxLj256ELj4ELj100EEvPKT0_PS1_
                                        ; -- End function
	.set _Z6kernelI4downxLj256ELj4ELj100EEvPKT0_PS1_.num_vgpr, 14
	.set _Z6kernelI4downxLj256ELj4ELj100EEvPKT0_PS1_.num_agpr, 0
	.set _Z6kernelI4downxLj256ELj4ELj100EEvPKT0_PS1_.numbered_sgpr, 7
	.set _Z6kernelI4downxLj256ELj4ELj100EEvPKT0_PS1_.num_named_barrier, 0
	.set _Z6kernelI4downxLj256ELj4ELj100EEvPKT0_PS1_.private_seg_size, 0
	.set _Z6kernelI4downxLj256ELj4ELj100EEvPKT0_PS1_.uses_vcc, 1
	.set _Z6kernelI4downxLj256ELj4ELj100EEvPKT0_PS1_.uses_flat_scratch, 0
	.set _Z6kernelI4downxLj256ELj4ELj100EEvPKT0_PS1_.has_dyn_sized_stack, 0
	.set _Z6kernelI4downxLj256ELj4ELj100EEvPKT0_PS1_.has_recursion, 0
	.set _Z6kernelI4downxLj256ELj4ELj100EEvPKT0_PS1_.has_indirect_call, 0
	.section	.AMDGPU.csdata,"",@progbits
; Kernel info:
; codeLenInByte = 280
; TotalNumSgprs: 9
; NumVgprs: 14
; ScratchSize: 0
; MemoryBound: 0
; FloatMode: 240
; IeeeMode: 1
; LDSByteSize: 2048 bytes/workgroup (compile time only)
; SGPRBlocks: 0
; VGPRBlocks: 0
; NumSGPRsForWavesPerEU: 9
; NumVGPRsForWavesPerEU: 14
; NamedBarCnt: 0
; Occupancy: 16
; WaveLimiterHint : 0
; COMPUTE_PGM_RSRC2:SCRATCH_EN: 0
; COMPUTE_PGM_RSRC2:USER_SGPR: 2
; COMPUTE_PGM_RSRC2:TRAP_HANDLER: 0
; COMPUTE_PGM_RSRC2:TGID_X_EN: 1
; COMPUTE_PGM_RSRC2:TGID_Y_EN: 0
; COMPUTE_PGM_RSRC2:TGID_Z_EN: 0
; COMPUTE_PGM_RSRC2:TIDIG_COMP_CNT: 0
	.section	.text._Z6kernelI4downxLj256ELj8ELj100EEvPKT0_PS1_,"axG",@progbits,_Z6kernelI4downxLj256ELj8ELj100EEvPKT0_PS1_,comdat
	.protected	_Z6kernelI4downxLj256ELj8ELj100EEvPKT0_PS1_ ; -- Begin function _Z6kernelI4downxLj256ELj8ELj100EEvPKT0_PS1_
	.globl	_Z6kernelI4downxLj256ELj8ELj100EEvPKT0_PS1_
	.p2align	8
	.type	_Z6kernelI4downxLj256ELj8ELj100EEvPKT0_PS1_,@function
_Z6kernelI4downxLj256ELj8ELj100EEvPKT0_PS1_: ; @_Z6kernelI4downxLj256ELj8ELj100EEvPKT0_PS1_
; %bb.0:
	s_load_b128 s[0:3], s[0:1], 0x0
	s_bfe_u32 s4, ttmp6, 0x4000c
	s_and_b32 s5, ttmp6, 15
	s_add_co_i32 s4, s4, 1
	s_getreg_b32 s6, hwreg(HW_REG_IB_STS2, 6, 4)
	s_mul_i32 s4, ttmp9, s4
	v_dual_lshlrev_b32 v1, 3, v0 :: v_dual_mov_b32 v21, 0
	s_add_co_i32 s5, s5, s4
	s_cmp_eq_u32 s6, 0
	v_cmp_gt_u32_e32 vcc_lo, 0xff, v0
	s_cselect_b32 s4, ttmp9, s5
	s_delay_alu instid0(SALU_CYCLE_1) | instskip(SKIP_1) | instid1(VALU_DEP_1)
	v_lshl_or_b32 v20, s4, 11, v1
	s_wait_kmcnt 0x0
	v_lshl_add_u64 v[18:19], v[20:21], 3, s[0:1]
	s_movk_i32 s0, 0x64
	s_clause 0x3
	global_load_b128 v[2:5], v[18:19], off offset:48
	global_load_b128 v[6:9], v[18:19], off offset:32
	;; [unrolled: 1-line block ×3, first 2 shown]
	global_load_b128 v[14:17], v[18:19], off
.LBB83_1:                               ; =>This Inner Loop Header: Depth=1
	s_wait_loadcnt 0x0
	v_mov_b64_e32 v[18:19], v[16:17]
	v_mov_b64_e32 v[16:17], v[10:11]
	;; [unrolled: 1-line block ×7, first 2 shown]
	ds_store_b64 v1, v[14:15]
	s_wait_dscnt 0x0
	s_barrier_signal -1
	s_barrier_wait -1
	s_and_saveexec_b32 s1, vcc_lo
; %bb.2:                                ;   in Loop: Header=BB83_1 Depth=1
	ds_load_b64 v[4:5], v1 offset:8
; %bb.3:                                ;   in Loop: Header=BB83_1 Depth=1
	s_or_b32 exec_lo, exec_lo, s1
	s_add_co_i32 s0, s0, -1
	s_wait_dscnt 0x0
	s_cmp_lg_u32 s0, 0
	s_barrier_signal -1
	s_barrier_wait -1
	s_cbranch_scc0 .LBB83_5
; %bb.4:                                ;   in Loop: Header=BB83_1 Depth=1
	v_mov_b64_e32 v[14:15], v[18:19]
	s_branch .LBB83_1
.LBB83_5:
	v_lshl_add_u64 v[0:1], v[20:21], 3, s[2:3]
	v_dual_mov_b32 v20, v16 :: v_dual_mov_b32 v21, v17
	s_clause 0x3
	global_store_b128 v[0:1], v[18:21], off
	global_store_b128 v[0:1], v[10:13], off offset:16
	global_store_b128 v[0:1], v[6:9], off offset:32
	;; [unrolled: 1-line block ×3, first 2 shown]
	s_endpgm
	.section	.rodata,"a",@progbits
	.p2align	6, 0x0
	.amdhsa_kernel _Z6kernelI4downxLj256ELj8ELj100EEvPKT0_PS1_
		.amdhsa_group_segment_fixed_size 2048
		.amdhsa_private_segment_fixed_size 0
		.amdhsa_kernarg_size 16
		.amdhsa_user_sgpr_count 2
		.amdhsa_user_sgpr_dispatch_ptr 0
		.amdhsa_user_sgpr_queue_ptr 0
		.amdhsa_user_sgpr_kernarg_segment_ptr 1
		.amdhsa_user_sgpr_dispatch_id 0
		.amdhsa_user_sgpr_kernarg_preload_length 0
		.amdhsa_user_sgpr_kernarg_preload_offset 0
		.amdhsa_user_sgpr_private_segment_size 0
		.amdhsa_wavefront_size32 1
		.amdhsa_uses_dynamic_stack 0
		.amdhsa_enable_private_segment 0
		.amdhsa_system_sgpr_workgroup_id_x 1
		.amdhsa_system_sgpr_workgroup_id_y 0
		.amdhsa_system_sgpr_workgroup_id_z 0
		.amdhsa_system_sgpr_workgroup_info 0
		.amdhsa_system_vgpr_workitem_id 0
		.amdhsa_next_free_vgpr 22
		.amdhsa_next_free_sgpr 7
		.amdhsa_named_barrier_count 0
		.amdhsa_reserve_vcc 1
		.amdhsa_float_round_mode_32 0
		.amdhsa_float_round_mode_16_64 0
		.amdhsa_float_denorm_mode_32 3
		.amdhsa_float_denorm_mode_16_64 3
		.amdhsa_fp16_overflow 0
		.amdhsa_memory_ordered 1
		.amdhsa_forward_progress 1
		.amdhsa_inst_pref_size 3
		.amdhsa_round_robin_scheduling 0
		.amdhsa_exception_fp_ieee_invalid_op 0
		.amdhsa_exception_fp_denorm_src 0
		.amdhsa_exception_fp_ieee_div_zero 0
		.amdhsa_exception_fp_ieee_overflow 0
		.amdhsa_exception_fp_ieee_underflow 0
		.amdhsa_exception_fp_ieee_inexact 0
		.amdhsa_exception_int_div_zero 0
	.end_amdhsa_kernel
	.section	.text._Z6kernelI4downxLj256ELj8ELj100EEvPKT0_PS1_,"axG",@progbits,_Z6kernelI4downxLj256ELj8ELj100EEvPKT0_PS1_,comdat
.Lfunc_end83:
	.size	_Z6kernelI4downxLj256ELj8ELj100EEvPKT0_PS1_, .Lfunc_end83-_Z6kernelI4downxLj256ELj8ELj100EEvPKT0_PS1_
                                        ; -- End function
	.set _Z6kernelI4downxLj256ELj8ELj100EEvPKT0_PS1_.num_vgpr, 22
	.set _Z6kernelI4downxLj256ELj8ELj100EEvPKT0_PS1_.num_agpr, 0
	.set _Z6kernelI4downxLj256ELj8ELj100EEvPKT0_PS1_.numbered_sgpr, 7
	.set _Z6kernelI4downxLj256ELj8ELj100EEvPKT0_PS1_.num_named_barrier, 0
	.set _Z6kernelI4downxLj256ELj8ELj100EEvPKT0_PS1_.private_seg_size, 0
	.set _Z6kernelI4downxLj256ELj8ELj100EEvPKT0_PS1_.uses_vcc, 1
	.set _Z6kernelI4downxLj256ELj8ELj100EEvPKT0_PS1_.uses_flat_scratch, 0
	.set _Z6kernelI4downxLj256ELj8ELj100EEvPKT0_PS1_.has_dyn_sized_stack, 0
	.set _Z6kernelI4downxLj256ELj8ELj100EEvPKT0_PS1_.has_recursion, 0
	.set _Z6kernelI4downxLj256ELj8ELj100EEvPKT0_PS1_.has_indirect_call, 0
	.section	.AMDGPU.csdata,"",@progbits
; Kernel info:
; codeLenInByte = 316
; TotalNumSgprs: 9
; NumVgprs: 22
; ScratchSize: 0
; MemoryBound: 1
; FloatMode: 240
; IeeeMode: 1
; LDSByteSize: 2048 bytes/workgroup (compile time only)
; SGPRBlocks: 0
; VGPRBlocks: 1
; NumSGPRsForWavesPerEU: 9
; NumVGPRsForWavesPerEU: 22
; NamedBarCnt: 0
; Occupancy: 16
; WaveLimiterHint : 0
; COMPUTE_PGM_RSRC2:SCRATCH_EN: 0
; COMPUTE_PGM_RSRC2:USER_SGPR: 2
; COMPUTE_PGM_RSRC2:TRAP_HANDLER: 0
; COMPUTE_PGM_RSRC2:TGID_X_EN: 1
; COMPUTE_PGM_RSRC2:TGID_Y_EN: 0
; COMPUTE_PGM_RSRC2:TGID_Z_EN: 0
; COMPUTE_PGM_RSRC2:TIDIG_COMP_CNT: 0
	.section	.text._Z6kernelI4downxLj256ELj16ELj100EEvPKT0_PS1_,"axG",@progbits,_Z6kernelI4downxLj256ELj16ELj100EEvPKT0_PS1_,comdat
	.protected	_Z6kernelI4downxLj256ELj16ELj100EEvPKT0_PS1_ ; -- Begin function _Z6kernelI4downxLj256ELj16ELj100EEvPKT0_PS1_
	.globl	_Z6kernelI4downxLj256ELj16ELj100EEvPKT0_PS1_
	.p2align	8
	.type	_Z6kernelI4downxLj256ELj16ELj100EEvPKT0_PS1_,@function
_Z6kernelI4downxLj256ELj16ELj100EEvPKT0_PS1_: ; @_Z6kernelI4downxLj256ELj16ELj100EEvPKT0_PS1_
; %bb.0:
	s_load_b128 s[0:3], s[0:1], 0x0
	s_bfe_u32 s4, ttmp6, 0x4000c
	s_and_b32 s5, ttmp6, 15
	s_add_co_i32 s4, s4, 1
	s_getreg_b32 s6, hwreg(HW_REG_IB_STS2, 6, 4)
	s_mul_i32 s4, ttmp9, s4
	v_dual_lshlrev_b32 v1, 4, v0 :: v_dual_mov_b32 v37, 0
	s_add_co_i32 s5, s5, s4
	s_cmp_eq_u32 s6, 0
	v_cmp_gt_u32_e32 vcc_lo, 0xff, v0
	s_cselect_b32 s4, ttmp9, s5
	s_delay_alu instid0(SALU_CYCLE_1) | instskip(SKIP_2) | instid1(VALU_DEP_2)
	v_lshl_or_b32 v36, s4, 12, v1
	v_lshlrev_b32_e32 v1, 3, v0
	s_wait_kmcnt 0x0
	v_lshl_add_u64 v[34:35], v[36:37], 3, s[0:1]
	s_movk_i32 s0, 0x64
	s_clause 0x7
	global_load_b128 v[2:5], v[34:35], off offset:48
	global_load_b128 v[6:9], v[34:35], off offset:32
	;; [unrolled: 1-line block ×3, first 2 shown]
	global_load_b128 v[22:25], v[34:35], off
	global_load_b128 v[10:13], v[34:35], off offset:112
	global_load_b128 v[18:21], v[34:35], off offset:96
	global_load_b128 v[26:29], v[34:35], off offset:80
	global_load_b128 v[30:33], v[34:35], off offset:64
.LBB84_1:                               ; =>This Inner Loop Header: Depth=1
	s_wait_loadcnt 0x4
	s_wait_xcnt 0x0
	v_mov_b64_e32 v[34:35], v[24:25]
	v_mov_b64_e32 v[24:25], v[14:15]
	;; [unrolled: 1-line block ×7, first 2 shown]
	s_wait_loadcnt 0x0
	v_mov_b64_e32 v[4:5], v[30:31]
	v_mov_b64_e32 v[30:31], v[32:33]
	;; [unrolled: 1-line block ×8, first 2 shown]
	ds_store_b64 v1, v[22:23]
	s_wait_dscnt 0x0
	s_barrier_signal -1
	s_barrier_wait -1
	s_and_saveexec_b32 s1, vcc_lo
; %bb.2:                                ;   in Loop: Header=BB84_1 Depth=1
	ds_load_b64 v[12:13], v1 offset:8
; %bb.3:                                ;   in Loop: Header=BB84_1 Depth=1
	s_or_b32 exec_lo, exec_lo, s1
	s_add_co_i32 s0, s0, -1
	s_wait_dscnt 0x0
	s_cmp_lg_u32 s0, 0
	s_barrier_signal -1
	s_barrier_wait -1
	s_cbranch_scc0 .LBB84_5
; %bb.4:                                ;   in Loop: Header=BB84_1 Depth=1
	v_mov_b64_e32 v[22:23], v[34:35]
	s_branch .LBB84_1
.LBB84_5:
	v_lshl_add_u64 v[0:1], v[36:37], 3, s[2:3]
	v_dual_mov_b32 v36, v24 :: v_dual_mov_b32 v37, v25
	s_clause 0x7
	global_store_b128 v[0:1], v[34:37], off
	global_store_b128 v[0:1], v[14:17], off offset:16
	global_store_b128 v[0:1], v[6:9], off offset:32
	;; [unrolled: 1-line block ×7, first 2 shown]
	s_endpgm
	.section	.rodata,"a",@progbits
	.p2align	6, 0x0
	.amdhsa_kernel _Z6kernelI4downxLj256ELj16ELj100EEvPKT0_PS1_
		.amdhsa_group_segment_fixed_size 2048
		.amdhsa_private_segment_fixed_size 0
		.amdhsa_kernarg_size 16
		.amdhsa_user_sgpr_count 2
		.amdhsa_user_sgpr_dispatch_ptr 0
		.amdhsa_user_sgpr_queue_ptr 0
		.amdhsa_user_sgpr_kernarg_segment_ptr 1
		.amdhsa_user_sgpr_dispatch_id 0
		.amdhsa_user_sgpr_kernarg_preload_length 0
		.amdhsa_user_sgpr_kernarg_preload_offset 0
		.amdhsa_user_sgpr_private_segment_size 0
		.amdhsa_wavefront_size32 1
		.amdhsa_uses_dynamic_stack 0
		.amdhsa_enable_private_segment 0
		.amdhsa_system_sgpr_workgroup_id_x 1
		.amdhsa_system_sgpr_workgroup_id_y 0
		.amdhsa_system_sgpr_workgroup_id_z 0
		.amdhsa_system_sgpr_workgroup_info 0
		.amdhsa_system_vgpr_workitem_id 0
		.amdhsa_next_free_vgpr 38
		.amdhsa_next_free_sgpr 7
		.amdhsa_named_barrier_count 0
		.amdhsa_reserve_vcc 1
		.amdhsa_float_round_mode_32 0
		.amdhsa_float_round_mode_16_64 0
		.amdhsa_float_denorm_mode_32 3
		.amdhsa_float_denorm_mode_16_64 3
		.amdhsa_fp16_overflow 0
		.amdhsa_memory_ordered 1
		.amdhsa_forward_progress 1
		.amdhsa_inst_pref_size 4
		.amdhsa_round_robin_scheduling 0
		.amdhsa_exception_fp_ieee_invalid_op 0
		.amdhsa_exception_fp_denorm_src 0
		.amdhsa_exception_fp_ieee_div_zero 0
		.amdhsa_exception_fp_ieee_overflow 0
		.amdhsa_exception_fp_ieee_underflow 0
		.amdhsa_exception_fp_ieee_inexact 0
		.amdhsa_exception_int_div_zero 0
	.end_amdhsa_kernel
	.section	.text._Z6kernelI4downxLj256ELj16ELj100EEvPKT0_PS1_,"axG",@progbits,_Z6kernelI4downxLj256ELj16ELj100EEvPKT0_PS1_,comdat
.Lfunc_end84:
	.size	_Z6kernelI4downxLj256ELj16ELj100EEvPKT0_PS1_, .Lfunc_end84-_Z6kernelI4downxLj256ELj16ELj100EEvPKT0_PS1_
                                        ; -- End function
	.set _Z6kernelI4downxLj256ELj16ELj100EEvPKT0_PS1_.num_vgpr, 38
	.set _Z6kernelI4downxLj256ELj16ELj100EEvPKT0_PS1_.num_agpr, 0
	.set _Z6kernelI4downxLj256ELj16ELj100EEvPKT0_PS1_.numbered_sgpr, 7
	.set _Z6kernelI4downxLj256ELj16ELj100EEvPKT0_PS1_.num_named_barrier, 0
	.set _Z6kernelI4downxLj256ELj16ELj100EEvPKT0_PS1_.private_seg_size, 0
	.set _Z6kernelI4downxLj256ELj16ELj100EEvPKT0_PS1_.uses_vcc, 1
	.set _Z6kernelI4downxLj256ELj16ELj100EEvPKT0_PS1_.uses_flat_scratch, 0
	.set _Z6kernelI4downxLj256ELj16ELj100EEvPKT0_PS1_.has_dyn_sized_stack, 0
	.set _Z6kernelI4downxLj256ELj16ELj100EEvPKT0_PS1_.has_recursion, 0
	.set _Z6kernelI4downxLj256ELj16ELj100EEvPKT0_PS1_.has_indirect_call, 0
	.section	.AMDGPU.csdata,"",@progbits
; Kernel info:
; codeLenInByte = 456
; TotalNumSgprs: 9
; NumVgprs: 38
; ScratchSize: 0
; MemoryBound: 1
; FloatMode: 240
; IeeeMode: 1
; LDSByteSize: 2048 bytes/workgroup (compile time only)
; SGPRBlocks: 0
; VGPRBlocks: 2
; NumSGPRsForWavesPerEU: 9
; NumVGPRsForWavesPerEU: 38
; NamedBarCnt: 0
; Occupancy: 16
; WaveLimiterHint : 0
; COMPUTE_PGM_RSRC2:SCRATCH_EN: 0
; COMPUTE_PGM_RSRC2:USER_SGPR: 2
; COMPUTE_PGM_RSRC2:TRAP_HANDLER: 0
; COMPUTE_PGM_RSRC2:TGID_X_EN: 1
; COMPUTE_PGM_RSRC2:TGID_Y_EN: 0
; COMPUTE_PGM_RSRC2:TGID_Z_EN: 0
; COMPUTE_PGM_RSRC2:TIDIG_COMP_CNT: 0
	.section	.text._Z6kernelI4downxLj256ELj32ELj100EEvPKT0_PS1_,"axG",@progbits,_Z6kernelI4downxLj256ELj32ELj100EEvPKT0_PS1_,comdat
	.protected	_Z6kernelI4downxLj256ELj32ELj100EEvPKT0_PS1_ ; -- Begin function _Z6kernelI4downxLj256ELj32ELj100EEvPKT0_PS1_
	.globl	_Z6kernelI4downxLj256ELj32ELj100EEvPKT0_PS1_
	.p2align	8
	.type	_Z6kernelI4downxLj256ELj32ELj100EEvPKT0_PS1_,@function
_Z6kernelI4downxLj256ELj32ELj100EEvPKT0_PS1_: ; @_Z6kernelI4downxLj256ELj32ELj100EEvPKT0_PS1_
; %bb.0:
	s_load_b128 s[0:3], s[0:1], 0x0
	s_bfe_u32 s4, ttmp6, 0x4000c
	s_and_b32 s5, ttmp6, 15
	s_add_co_i32 s4, s4, 1
	s_getreg_b32 s6, hwreg(HW_REG_IB_STS2, 6, 4)
	s_mul_i32 s4, ttmp9, s4
	v_dual_lshlrev_b32 v1, 5, v0 :: v_dual_mov_b32 v69, 0
	s_add_co_i32 s5, s5, s4
	s_cmp_eq_u32 s6, 0
	v_cmp_gt_u32_e32 vcc_lo, 0xff, v0
	s_cselect_b32 s4, ttmp9, s5
	s_delay_alu instid0(SALU_CYCLE_1) | instskip(SKIP_2) | instid1(VALU_DEP_2)
	v_lshl_or_b32 v68, s4, 13, v1
	v_lshlrev_b32_e32 v1, 3, v0
	s_wait_kmcnt 0x0
	v_lshl_add_u64 v[18:19], v[68:69], 3, s[0:1]
	s_movk_i32 s0, 0x64
	s_clause 0xf
	global_load_b128 v[46:49], v[18:19], off offset:48
	global_load_b128 v[54:57], v[18:19], off offset:32
	;; [unrolled: 1-line block ×3, first 2 shown]
	global_load_b128 v[62:65], v[18:19], off
	global_load_b128 v[30:33], v[18:19], off offset:112
	global_load_b128 v[38:41], v[18:19], off offset:96
	;; [unrolled: 1-line block ×12, first 2 shown]
.LBB85_1:                               ; =>This Inner Loop Header: Depth=1
	s_wait_loadcnt 0xc
	v_mov_b64_e32 v[66:67], v[64:65]
	v_mov_b64_e32 v[64:65], v[58:59]
	v_mov_b64_e32 v[58:59], v[60:61]
	v_mov_b64_e32 v[60:61], v[54:55]
	v_mov_b64_e32 v[54:55], v[56:57]
	v_mov_b64_e32 v[56:57], v[46:47]
	v_mov_b64_e32 v[46:47], v[48:49]
	s_wait_loadcnt 0x8
	v_mov_b64_e32 v[48:49], v[50:51]
	v_mov_b64_e32 v[50:51], v[52:53]
	v_mov_b64_e32 v[52:53], v[42:43]
	v_mov_b64_e32 v[42:43], v[44:45]
	v_mov_b64_e32 v[44:45], v[38:39]
	v_mov_b64_e32 v[38:39], v[40:41]
	v_mov_b64_e32 v[40:41], v[30:31]
	v_mov_b64_e32 v[30:31], v[32:33]
	s_wait_loadcnt 0x4
	v_mov_b64_e32 v[32:33], v[34:35]
	;; [unrolled: 9-line block ×3, first 2 shown]
	v_mov_b64_e32 v[18:19], v[20:21]
	v_mov_b64_e32 v[20:21], v[10:11]
	;; [unrolled: 1-line block ×7, first 2 shown]
	ds_store_b64 v1, v[62:63]
	s_wait_dscnt 0x0
	s_barrier_signal -1
	s_barrier_wait -1
	s_and_saveexec_b32 s1, vcc_lo
; %bb.2:                                ;   in Loop: Header=BB85_1 Depth=1
	ds_load_b64 v[4:5], v1 offset:8
; %bb.3:                                ;   in Loop: Header=BB85_1 Depth=1
	s_or_b32 exec_lo, exec_lo, s1
	s_add_co_i32 s0, s0, -1
	s_wait_dscnt 0x0
	s_cmp_lg_u32 s0, 0
	s_barrier_signal -1
	s_barrier_wait -1
	s_cbranch_scc0 .LBB85_5
; %bb.4:                                ;   in Loop: Header=BB85_1 Depth=1
	v_mov_b64_e32 v[62:63], v[66:67]
	s_branch .LBB85_1
.LBB85_5:
	v_lshl_add_u64 v[0:1], v[68:69], 3, s[2:3]
	v_dual_mov_b32 v68, v64 :: v_dual_mov_b32 v69, v65
	s_clause 0xf
	global_store_b128 v[0:1], v[66:69], off
	global_store_b128 v[0:1], v[58:61], off offset:16
	global_store_b128 v[0:1], v[54:57], off offset:32
	;; [unrolled: 1-line block ×15, first 2 shown]
	s_sendmsg sendmsg(MSG_DEALLOC_VGPRS)
	s_endpgm
	.section	.rodata,"a",@progbits
	.p2align	6, 0x0
	.amdhsa_kernel _Z6kernelI4downxLj256ELj32ELj100EEvPKT0_PS1_
		.amdhsa_group_segment_fixed_size 2048
		.amdhsa_private_segment_fixed_size 0
		.amdhsa_kernarg_size 16
		.amdhsa_user_sgpr_count 2
		.amdhsa_user_sgpr_dispatch_ptr 0
		.amdhsa_user_sgpr_queue_ptr 0
		.amdhsa_user_sgpr_kernarg_segment_ptr 1
		.amdhsa_user_sgpr_dispatch_id 0
		.amdhsa_user_sgpr_kernarg_preload_length 0
		.amdhsa_user_sgpr_kernarg_preload_offset 0
		.amdhsa_user_sgpr_private_segment_size 0
		.amdhsa_wavefront_size32 1
		.amdhsa_uses_dynamic_stack 0
		.amdhsa_enable_private_segment 0
		.amdhsa_system_sgpr_workgroup_id_x 1
		.amdhsa_system_sgpr_workgroup_id_y 0
		.amdhsa_system_sgpr_workgroup_id_z 0
		.amdhsa_system_sgpr_workgroup_info 0
		.amdhsa_system_vgpr_workitem_id 0
		.amdhsa_next_free_vgpr 70
		.amdhsa_next_free_sgpr 7
		.amdhsa_named_barrier_count 0
		.amdhsa_reserve_vcc 1
		.amdhsa_float_round_mode_32 0
		.amdhsa_float_round_mode_16_64 0
		.amdhsa_float_denorm_mode_32 3
		.amdhsa_float_denorm_mode_16_64 3
		.amdhsa_fp16_overflow 0
		.amdhsa_memory_ordered 1
		.amdhsa_forward_progress 1
		.amdhsa_inst_pref_size 6
		.amdhsa_round_robin_scheduling 0
		.amdhsa_exception_fp_ieee_invalid_op 0
		.amdhsa_exception_fp_denorm_src 0
		.amdhsa_exception_fp_ieee_div_zero 0
		.amdhsa_exception_fp_ieee_overflow 0
		.amdhsa_exception_fp_ieee_underflow 0
		.amdhsa_exception_fp_ieee_inexact 0
		.amdhsa_exception_int_div_zero 0
	.end_amdhsa_kernel
	.section	.text._Z6kernelI4downxLj256ELj32ELj100EEvPKT0_PS1_,"axG",@progbits,_Z6kernelI4downxLj256ELj32ELj100EEvPKT0_PS1_,comdat
.Lfunc_end85:
	.size	_Z6kernelI4downxLj256ELj32ELj100EEvPKT0_PS1_, .Lfunc_end85-_Z6kernelI4downxLj256ELj32ELj100EEvPKT0_PS1_
                                        ; -- End function
	.set _Z6kernelI4downxLj256ELj32ELj100EEvPKT0_PS1_.num_vgpr, 70
	.set _Z6kernelI4downxLj256ELj32ELj100EEvPKT0_PS1_.num_agpr, 0
	.set _Z6kernelI4downxLj256ELj32ELj100EEvPKT0_PS1_.numbered_sgpr, 7
	.set _Z6kernelI4downxLj256ELj32ELj100EEvPKT0_PS1_.num_named_barrier, 0
	.set _Z6kernelI4downxLj256ELj32ELj100EEvPKT0_PS1_.private_seg_size, 0
	.set _Z6kernelI4downxLj256ELj32ELj100EEvPKT0_PS1_.uses_vcc, 1
	.set _Z6kernelI4downxLj256ELj32ELj100EEvPKT0_PS1_.uses_flat_scratch, 0
	.set _Z6kernelI4downxLj256ELj32ELj100EEvPKT0_PS1_.has_dyn_sized_stack, 0
	.set _Z6kernelI4downxLj256ELj32ELj100EEvPKT0_PS1_.has_recursion, 0
	.set _Z6kernelI4downxLj256ELj32ELj100EEvPKT0_PS1_.has_indirect_call, 0
	.section	.AMDGPU.csdata,"",@progbits
; Kernel info:
; codeLenInByte = 720
; TotalNumSgprs: 9
; NumVgprs: 70
; ScratchSize: 0
; MemoryBound: 1
; FloatMode: 240
; IeeeMode: 1
; LDSByteSize: 2048 bytes/workgroup (compile time only)
; SGPRBlocks: 0
; VGPRBlocks: 4
; NumSGPRsForWavesPerEU: 9
; NumVGPRsForWavesPerEU: 70
; NamedBarCnt: 0
; Occupancy: 12
; WaveLimiterHint : 0
; COMPUTE_PGM_RSRC2:SCRATCH_EN: 0
; COMPUTE_PGM_RSRC2:USER_SGPR: 2
; COMPUTE_PGM_RSRC2:TRAP_HANDLER: 0
; COMPUTE_PGM_RSRC2:TGID_X_EN: 1
; COMPUTE_PGM_RSRC2:TGID_Y_EN: 0
; COMPUTE_PGM_RSRC2:TGID_Z_EN: 0
; COMPUTE_PGM_RSRC2:TIDIG_COMP_CNT: 0
	.section	.text._Z6kernelI4downN15benchmark_utils11custom_typeIffEELj256ELj1ELj100EEvPKT0_PS4_,"axG",@progbits,_Z6kernelI4downN15benchmark_utils11custom_typeIffEELj256ELj1ELj100EEvPKT0_PS4_,comdat
	.protected	_Z6kernelI4downN15benchmark_utils11custom_typeIffEELj256ELj1ELj100EEvPKT0_PS4_ ; -- Begin function _Z6kernelI4downN15benchmark_utils11custom_typeIffEELj256ELj1ELj100EEvPKT0_PS4_
	.globl	_Z6kernelI4downN15benchmark_utils11custom_typeIffEELj256ELj1ELj100EEvPKT0_PS4_
	.p2align	8
	.type	_Z6kernelI4downN15benchmark_utils11custom_typeIffEELj256ELj1ELj100EEvPKT0_PS4_,@function
_Z6kernelI4downN15benchmark_utils11custom_typeIffEELj256ELj1ELj100EEvPKT0_PS4_: ; @_Z6kernelI4downN15benchmark_utils11custom_typeIffEELj256ELj1ELj100EEvPKT0_PS4_
; %bb.0:
	s_load_b128 s[0:3], s[0:1], 0x0
	s_bfe_u32 s4, ttmp6, 0x4000c
	s_and_b32 s5, ttmp6, 15
	s_add_co_i32 s4, s4, 1
	s_getreg_b32 s6, hwreg(HW_REG_IB_STS2, 6, 4)
	s_mul_i32 s4, ttmp9, s4
	v_dual_mov_b32 v3, 0 :: v_dual_lshlrev_b32 v1, 3, v0
	s_add_co_i32 s5, s5, s4
	s_cmp_eq_u32 s6, 0
	v_cmp_gt_u32_e32 vcc_lo, 0xff, v0
	s_cselect_b32 s4, ttmp9, s5
	s_delay_alu instid0(SALU_CYCLE_1)
	v_lshl_or_b32 v2, s4, 8, v0
	s_wait_kmcnt 0x0
	global_load_b64 v[4:5], v2, s[0:1] scale_offset
	s_wait_xcnt 0x0
	s_movk_i32 s0, 0x64
	s_branch .LBB86_2
.LBB86_1:                               ;   in Loop: Header=BB86_2 Depth=1
	s_or_b32 exec_lo, exec_lo, s1
	s_add_co_i32 s0, s0, -1
	s_wait_dscnt 0x0
	s_cmp_lg_u32 s0, 0
	s_barrier_signal -1
	s_barrier_wait -1
	s_cbranch_scc0 .LBB86_4
.LBB86_2:                               ; =>This Inner Loop Header: Depth=1
	s_wait_loadcnt 0x0
	ds_store_2addr_b32 v1, v4, v5 offset1:1
	s_wait_dscnt 0x0
	s_barrier_signal -1
	s_barrier_wait -1
	s_and_saveexec_b32 s1, vcc_lo
	s_cbranch_execz .LBB86_1
; %bb.3:                                ;   in Loop: Header=BB86_2 Depth=1
	ds_load_2addr_b32 v[4:5], v1 offset0:2 offset1:3
	s_branch .LBB86_1
.LBB86_4:
	v_lshl_add_u64 v[0:1], v[2:3], 3, s[2:3]
	global_store_b64 v[0:1], v[4:5], off
	s_endpgm
	.section	.rodata,"a",@progbits
	.p2align	6, 0x0
	.amdhsa_kernel _Z6kernelI4downN15benchmark_utils11custom_typeIffEELj256ELj1ELj100EEvPKT0_PS4_
		.amdhsa_group_segment_fixed_size 2048
		.amdhsa_private_segment_fixed_size 0
		.amdhsa_kernarg_size 16
		.amdhsa_user_sgpr_count 2
		.amdhsa_user_sgpr_dispatch_ptr 0
		.amdhsa_user_sgpr_queue_ptr 0
		.amdhsa_user_sgpr_kernarg_segment_ptr 1
		.amdhsa_user_sgpr_dispatch_id 0
		.amdhsa_user_sgpr_kernarg_preload_length 0
		.amdhsa_user_sgpr_kernarg_preload_offset 0
		.amdhsa_user_sgpr_private_segment_size 0
		.amdhsa_wavefront_size32 1
		.amdhsa_uses_dynamic_stack 0
		.amdhsa_enable_private_segment 0
		.amdhsa_system_sgpr_workgroup_id_x 1
		.amdhsa_system_sgpr_workgroup_id_y 0
		.amdhsa_system_sgpr_workgroup_id_z 0
		.amdhsa_system_sgpr_workgroup_info 0
		.amdhsa_system_vgpr_workitem_id 0
		.amdhsa_next_free_vgpr 6
		.amdhsa_next_free_sgpr 7
		.amdhsa_named_barrier_count 0
		.amdhsa_reserve_vcc 1
		.amdhsa_float_round_mode_32 0
		.amdhsa_float_round_mode_16_64 0
		.amdhsa_float_denorm_mode_32 3
		.amdhsa_float_denorm_mode_16_64 3
		.amdhsa_fp16_overflow 0
		.amdhsa_memory_ordered 1
		.amdhsa_forward_progress 1
		.amdhsa_inst_pref_size 2
		.amdhsa_round_robin_scheduling 0
		.amdhsa_exception_fp_ieee_invalid_op 0
		.amdhsa_exception_fp_denorm_src 0
		.amdhsa_exception_fp_ieee_div_zero 0
		.amdhsa_exception_fp_ieee_overflow 0
		.amdhsa_exception_fp_ieee_underflow 0
		.amdhsa_exception_fp_ieee_inexact 0
		.amdhsa_exception_int_div_zero 0
	.end_amdhsa_kernel
	.section	.text._Z6kernelI4downN15benchmark_utils11custom_typeIffEELj256ELj1ELj100EEvPKT0_PS4_,"axG",@progbits,_Z6kernelI4downN15benchmark_utils11custom_typeIffEELj256ELj1ELj100EEvPKT0_PS4_,comdat
.Lfunc_end86:
	.size	_Z6kernelI4downN15benchmark_utils11custom_typeIffEELj256ELj1ELj100EEvPKT0_PS4_, .Lfunc_end86-_Z6kernelI4downN15benchmark_utils11custom_typeIffEELj256ELj1ELj100EEvPKT0_PS4_
                                        ; -- End function
	.set _Z6kernelI4downN15benchmark_utils11custom_typeIffEELj256ELj1ELj100EEvPKT0_PS4_.num_vgpr, 6
	.set _Z6kernelI4downN15benchmark_utils11custom_typeIffEELj256ELj1ELj100EEvPKT0_PS4_.num_agpr, 0
	.set _Z6kernelI4downN15benchmark_utils11custom_typeIffEELj256ELj1ELj100EEvPKT0_PS4_.numbered_sgpr, 7
	.set _Z6kernelI4downN15benchmark_utils11custom_typeIffEELj256ELj1ELj100EEvPKT0_PS4_.num_named_barrier, 0
	.set _Z6kernelI4downN15benchmark_utils11custom_typeIffEELj256ELj1ELj100EEvPKT0_PS4_.private_seg_size, 0
	.set _Z6kernelI4downN15benchmark_utils11custom_typeIffEELj256ELj1ELj100EEvPKT0_PS4_.uses_vcc, 1
	.set _Z6kernelI4downN15benchmark_utils11custom_typeIffEELj256ELj1ELj100EEvPKT0_PS4_.uses_flat_scratch, 0
	.set _Z6kernelI4downN15benchmark_utils11custom_typeIffEELj256ELj1ELj100EEvPKT0_PS4_.has_dyn_sized_stack, 0
	.set _Z6kernelI4downN15benchmark_utils11custom_typeIffEELj256ELj1ELj100EEvPKT0_PS4_.has_recursion, 0
	.set _Z6kernelI4downN15benchmark_utils11custom_typeIffEELj256ELj1ELj100EEvPKT0_PS4_.has_indirect_call, 0
	.section	.AMDGPU.csdata,"",@progbits
; Kernel info:
; codeLenInByte = 200
; TotalNumSgprs: 9
; NumVgprs: 6
; ScratchSize: 0
; MemoryBound: 0
; FloatMode: 240
; IeeeMode: 1
; LDSByteSize: 2048 bytes/workgroup (compile time only)
; SGPRBlocks: 0
; VGPRBlocks: 0
; NumSGPRsForWavesPerEU: 9
; NumVGPRsForWavesPerEU: 6
; NamedBarCnt: 0
; Occupancy: 16
; WaveLimiterHint : 0
; COMPUTE_PGM_RSRC2:SCRATCH_EN: 0
; COMPUTE_PGM_RSRC2:USER_SGPR: 2
; COMPUTE_PGM_RSRC2:TRAP_HANDLER: 0
; COMPUTE_PGM_RSRC2:TGID_X_EN: 1
; COMPUTE_PGM_RSRC2:TGID_Y_EN: 0
; COMPUTE_PGM_RSRC2:TGID_Z_EN: 0
; COMPUTE_PGM_RSRC2:TIDIG_COMP_CNT: 0
	.section	.text._Z6kernelI4downN15benchmark_utils11custom_typeIffEELj256ELj3ELj100EEvPKT0_PS4_,"axG",@progbits,_Z6kernelI4downN15benchmark_utils11custom_typeIffEELj256ELj3ELj100EEvPKT0_PS4_,comdat
	.protected	_Z6kernelI4downN15benchmark_utils11custom_typeIffEELj256ELj3ELj100EEvPKT0_PS4_ ; -- Begin function _Z6kernelI4downN15benchmark_utils11custom_typeIffEELj256ELj3ELj100EEvPKT0_PS4_
	.globl	_Z6kernelI4downN15benchmark_utils11custom_typeIffEELj256ELj3ELj100EEvPKT0_PS4_
	.p2align	8
	.type	_Z6kernelI4downN15benchmark_utils11custom_typeIffEELj256ELj3ELj100EEvPKT0_PS4_,@function
_Z6kernelI4downN15benchmark_utils11custom_typeIffEELj256ELj3ELj100EEvPKT0_PS4_: ; @_Z6kernelI4downN15benchmark_utils11custom_typeIffEELj256ELj3ELj100EEvPKT0_PS4_
; %bb.0:
	s_bfe_u32 s4, ttmp6, 0x4000c
	s_and_b32 s5, ttmp6, 15
	s_add_co_i32 s4, s4, 1
	s_load_b128 s[0:3], s[0:1], 0x0
	s_mul_i32 s4, ttmp9, s4
	s_getreg_b32 s6, hwreg(HW_REG_IB_STS2, 6, 4)
	s_add_co_i32 s5, s5, s4
	s_cmp_eq_u32 s6, 0
	v_dual_mov_b32 v3, 0 :: v_dual_lshlrev_b32 v14, 3, v0
	s_cselect_b32 s4, ttmp9, s5
	v_cmp_gt_u32_e32 vcc_lo, 0xff, v0
	v_lshl_or_b32 v1, s4, 8, v0
	s_delay_alu instid0(VALU_DEP_3) | instskip(NEXT) | instid1(VALU_DEP_2)
	v_dual_mov_b32 v5, v3 :: v_dual_mov_b32 v7, v3
	v_lshl_add_u32 v2, v1, 1, v1
	s_delay_alu instid0(VALU_DEP_1)
	v_dual_add_nc_u32 v4, 1, v2 :: v_dual_add_nc_u32 v6, 2, v2
	s_wait_kmcnt 0x0
	s_clause 0x2
	global_load_b64 v[12:13], v2, s[0:1] scale_offset
	global_load_b64 v[8:9], v4, s[0:1] scale_offset
	;; [unrolled: 1-line block ×3, first 2 shown]
	s_wait_xcnt 0x0
	s_movk_i32 s0, 0x64
.LBB87_1:                               ; =>This Inner Loop Header: Depth=1
	s_wait_loadcnt 0x1
	v_mov_b64_e32 v[0:1], v[8:9]
	s_wait_loadcnt 0x0
	v_mov_b64_e32 v[8:9], v[10:11]
	ds_store_2addr_b32 v14, v12, v13 offset1:1
	s_wait_dscnt 0x0
	s_barrier_signal -1
	s_barrier_wait -1
	s_and_saveexec_b32 s1, vcc_lo
; %bb.2:                                ;   in Loop: Header=BB87_1 Depth=1
	ds_load_2addr_b32 v[10:11], v14 offset0:2 offset1:3
; %bb.3:                                ;   in Loop: Header=BB87_1 Depth=1
	s_or_b32 exec_lo, exec_lo, s1
	s_add_co_i32 s0, s0, -1
	s_wait_dscnt 0x0
	s_cmp_lg_u32 s0, 0
	s_barrier_signal -1
	s_barrier_wait -1
	s_cbranch_scc0 .LBB87_5
; %bb.4:                                ;   in Loop: Header=BB87_1 Depth=1
	v_mov_b64_e32 v[12:13], v[0:1]
	s_branch .LBB87_1
.LBB87_5:
	v_lshl_add_u64 v[2:3], v[2:3], 3, s[2:3]
	v_lshl_add_u64 v[4:5], v[4:5], 3, s[2:3]
	v_lshl_add_u64 v[6:7], v[6:7], 3, s[2:3]
	s_clause 0x2
	global_store_b64 v[2:3], v[0:1], off
	global_store_b64 v[4:5], v[8:9], off
	;; [unrolled: 1-line block ×3, first 2 shown]
	s_endpgm
	.section	.rodata,"a",@progbits
	.p2align	6, 0x0
	.amdhsa_kernel _Z6kernelI4downN15benchmark_utils11custom_typeIffEELj256ELj3ELj100EEvPKT0_PS4_
		.amdhsa_group_segment_fixed_size 2048
		.amdhsa_private_segment_fixed_size 0
		.amdhsa_kernarg_size 16
		.amdhsa_user_sgpr_count 2
		.amdhsa_user_sgpr_dispatch_ptr 0
		.amdhsa_user_sgpr_queue_ptr 0
		.amdhsa_user_sgpr_kernarg_segment_ptr 1
		.amdhsa_user_sgpr_dispatch_id 0
		.amdhsa_user_sgpr_kernarg_preload_length 0
		.amdhsa_user_sgpr_kernarg_preload_offset 0
		.amdhsa_user_sgpr_private_segment_size 0
		.amdhsa_wavefront_size32 1
		.amdhsa_uses_dynamic_stack 0
		.amdhsa_enable_private_segment 0
		.amdhsa_system_sgpr_workgroup_id_x 1
		.amdhsa_system_sgpr_workgroup_id_y 0
		.amdhsa_system_sgpr_workgroup_id_z 0
		.amdhsa_system_sgpr_workgroup_info 0
		.amdhsa_system_vgpr_workitem_id 0
		.amdhsa_next_free_vgpr 15
		.amdhsa_next_free_sgpr 7
		.amdhsa_named_barrier_count 0
		.amdhsa_reserve_vcc 1
		.amdhsa_float_round_mode_32 0
		.amdhsa_float_round_mode_16_64 0
		.amdhsa_float_denorm_mode_32 3
		.amdhsa_float_denorm_mode_16_64 3
		.amdhsa_fp16_overflow 0
		.amdhsa_memory_ordered 1
		.amdhsa_forward_progress 1
		.amdhsa_inst_pref_size 3
		.amdhsa_round_robin_scheduling 0
		.amdhsa_exception_fp_ieee_invalid_op 0
		.amdhsa_exception_fp_denorm_src 0
		.amdhsa_exception_fp_ieee_div_zero 0
		.amdhsa_exception_fp_ieee_overflow 0
		.amdhsa_exception_fp_ieee_underflow 0
		.amdhsa_exception_fp_ieee_inexact 0
		.amdhsa_exception_int_div_zero 0
	.end_amdhsa_kernel
	.section	.text._Z6kernelI4downN15benchmark_utils11custom_typeIffEELj256ELj3ELj100EEvPKT0_PS4_,"axG",@progbits,_Z6kernelI4downN15benchmark_utils11custom_typeIffEELj256ELj3ELj100EEvPKT0_PS4_,comdat
.Lfunc_end87:
	.size	_Z6kernelI4downN15benchmark_utils11custom_typeIffEELj256ELj3ELj100EEvPKT0_PS4_, .Lfunc_end87-_Z6kernelI4downN15benchmark_utils11custom_typeIffEELj256ELj3ELj100EEvPKT0_PS4_
                                        ; -- End function
	.set _Z6kernelI4downN15benchmark_utils11custom_typeIffEELj256ELj3ELj100EEvPKT0_PS4_.num_vgpr, 15
	.set _Z6kernelI4downN15benchmark_utils11custom_typeIffEELj256ELj3ELj100EEvPKT0_PS4_.num_agpr, 0
	.set _Z6kernelI4downN15benchmark_utils11custom_typeIffEELj256ELj3ELj100EEvPKT0_PS4_.numbered_sgpr, 7
	.set _Z6kernelI4downN15benchmark_utils11custom_typeIffEELj256ELj3ELj100EEvPKT0_PS4_.num_named_barrier, 0
	.set _Z6kernelI4downN15benchmark_utils11custom_typeIffEELj256ELj3ELj100EEvPKT0_PS4_.private_seg_size, 0
	.set _Z6kernelI4downN15benchmark_utils11custom_typeIffEELj256ELj3ELj100EEvPKT0_PS4_.uses_vcc, 1
	.set _Z6kernelI4downN15benchmark_utils11custom_typeIffEELj256ELj3ELj100EEvPKT0_PS4_.uses_flat_scratch, 0
	.set _Z6kernelI4downN15benchmark_utils11custom_typeIffEELj256ELj3ELj100EEvPKT0_PS4_.has_dyn_sized_stack, 0
	.set _Z6kernelI4downN15benchmark_utils11custom_typeIffEELj256ELj3ELj100EEvPKT0_PS4_.has_recursion, 0
	.set _Z6kernelI4downN15benchmark_utils11custom_typeIffEELj256ELj3ELj100EEvPKT0_PS4_.has_indirect_call, 0
	.section	.AMDGPU.csdata,"",@progbits
; Kernel info:
; codeLenInByte = 312
; TotalNumSgprs: 9
; NumVgprs: 15
; ScratchSize: 0
; MemoryBound: 0
; FloatMode: 240
; IeeeMode: 1
; LDSByteSize: 2048 bytes/workgroup (compile time only)
; SGPRBlocks: 0
; VGPRBlocks: 0
; NumSGPRsForWavesPerEU: 9
; NumVGPRsForWavesPerEU: 15
; NamedBarCnt: 0
; Occupancy: 16
; WaveLimiterHint : 0
; COMPUTE_PGM_RSRC2:SCRATCH_EN: 0
; COMPUTE_PGM_RSRC2:USER_SGPR: 2
; COMPUTE_PGM_RSRC2:TRAP_HANDLER: 0
; COMPUTE_PGM_RSRC2:TGID_X_EN: 1
; COMPUTE_PGM_RSRC2:TGID_Y_EN: 0
; COMPUTE_PGM_RSRC2:TGID_Z_EN: 0
; COMPUTE_PGM_RSRC2:TIDIG_COMP_CNT: 0
	.section	.text._Z6kernelI4downN15benchmark_utils11custom_typeIffEELj256ELj4ELj100EEvPKT0_PS4_,"axG",@progbits,_Z6kernelI4downN15benchmark_utils11custom_typeIffEELj256ELj4ELj100EEvPKT0_PS4_,comdat
	.protected	_Z6kernelI4downN15benchmark_utils11custom_typeIffEELj256ELj4ELj100EEvPKT0_PS4_ ; -- Begin function _Z6kernelI4downN15benchmark_utils11custom_typeIffEELj256ELj4ELj100EEvPKT0_PS4_
	.globl	_Z6kernelI4downN15benchmark_utils11custom_typeIffEELj256ELj4ELj100EEvPKT0_PS4_
	.p2align	8
	.type	_Z6kernelI4downN15benchmark_utils11custom_typeIffEELj256ELj4ELj100EEvPKT0_PS4_,@function
_Z6kernelI4downN15benchmark_utils11custom_typeIffEELj256ELj4ELj100EEvPKT0_PS4_: ; @_Z6kernelI4downN15benchmark_utils11custom_typeIffEELj256ELj4ELj100EEvPKT0_PS4_
; %bb.0:
	s_load_b128 s[0:3], s[0:1], 0x0
	s_bfe_u32 s4, ttmp6, 0x4000c
	s_and_b32 s5, ttmp6, 15
	s_add_co_i32 s4, s4, 1
	s_getreg_b32 s6, hwreg(HW_REG_IB_STS2, 6, 4)
	s_mul_i32 s4, ttmp9, s4
	v_dual_lshlrev_b32 v1, 2, v0 :: v_dual_mov_b32 v11, 0
	s_add_co_i32 s5, s5, s4
	s_cmp_eq_u32 s6, 0
	v_cmp_gt_u32_e32 vcc_lo, 0xff, v0
	s_cselect_b32 s4, ttmp9, s5
	s_delay_alu instid0(SALU_CYCLE_1) | instskip(SKIP_1) | instid1(VALU_DEP_1)
	v_lshl_or_b32 v10, s4, 10, v1
	s_wait_kmcnt 0x0
	v_lshl_add_u64 v[12:13], v[10:11], 3, s[0:1]
	s_movk_i32 s0, 0x64
	s_clause 0x1
	global_load_b128 v[2:5], v[12:13], off offset:16
	global_load_b128 v[6:9], v[12:13], off
	s_wait_xcnt 0x0
	v_lshlrev_b32_e32 v12, 3, v0
.LBB88_1:                               ; =>This Inner Loop Header: Depth=1
	s_wait_loadcnt 0x0
	s_delay_alu instid0(VALU_DEP_4)
	v_mov_b64_e32 v[0:1], v[8:9]
	ds_store_2addr_b32 v12, v6, v7 offset1:1
	v_mov_b64_e32 v[6:7], v[4:5]
	s_wait_dscnt 0x0
	s_barrier_signal -1
	s_barrier_wait -1
	s_and_saveexec_b32 s1, vcc_lo
; %bb.2:                                ;   in Loop: Header=BB88_1 Depth=1
	ds_load_2addr_b32 v[6:7], v12 offset0:2 offset1:3
; %bb.3:                                ;   in Loop: Header=BB88_1 Depth=1
	s_or_b32 exec_lo, exec_lo, s1
	s_add_co_i32 s0, s0, -1
	s_wait_dscnt 0x0
	s_cmp_lg_u32 s0, 0
	s_barrier_signal -1
	s_barrier_wait -1
	s_cbranch_scc0 .LBB88_5
; %bb.4:                                ;   in Loop: Header=BB88_1 Depth=1
	v_mov_b64_e32 v[8:9], v[2:3]
	v_mov_b64_e32 v[2:3], v[4:5]
	;; [unrolled: 1-line block ×4, first 2 shown]
	s_branch .LBB88_1
.LBB88_5:
	v_lshl_add_u64 v[8:9], v[10:11], 3, s[2:3]
	s_clause 0x1
	global_store_b128 v[8:9], v[0:3], off
	global_store_b128 v[8:9], v[4:7], off offset:16
	s_endpgm
	.section	.rodata,"a",@progbits
	.p2align	6, 0x0
	.amdhsa_kernel _Z6kernelI4downN15benchmark_utils11custom_typeIffEELj256ELj4ELj100EEvPKT0_PS4_
		.amdhsa_group_segment_fixed_size 2048
		.amdhsa_private_segment_fixed_size 0
		.amdhsa_kernarg_size 16
		.amdhsa_user_sgpr_count 2
		.amdhsa_user_sgpr_dispatch_ptr 0
		.amdhsa_user_sgpr_queue_ptr 0
		.amdhsa_user_sgpr_kernarg_segment_ptr 1
		.amdhsa_user_sgpr_dispatch_id 0
		.amdhsa_user_sgpr_kernarg_preload_length 0
		.amdhsa_user_sgpr_kernarg_preload_offset 0
		.amdhsa_user_sgpr_private_segment_size 0
		.amdhsa_wavefront_size32 1
		.amdhsa_uses_dynamic_stack 0
		.amdhsa_enable_private_segment 0
		.amdhsa_system_sgpr_workgroup_id_x 1
		.amdhsa_system_sgpr_workgroup_id_y 0
		.amdhsa_system_sgpr_workgroup_id_z 0
		.amdhsa_system_sgpr_workgroup_info 0
		.amdhsa_system_vgpr_workitem_id 0
		.amdhsa_next_free_vgpr 14
		.amdhsa_next_free_sgpr 7
		.amdhsa_named_barrier_count 0
		.amdhsa_reserve_vcc 1
		.amdhsa_float_round_mode_32 0
		.amdhsa_float_round_mode_16_64 0
		.amdhsa_float_denorm_mode_32 3
		.amdhsa_float_denorm_mode_16_64 3
		.amdhsa_fp16_overflow 0
		.amdhsa_memory_ordered 1
		.amdhsa_forward_progress 1
		.amdhsa_inst_pref_size 3
		.amdhsa_round_robin_scheduling 0
		.amdhsa_exception_fp_ieee_invalid_op 0
		.amdhsa_exception_fp_denorm_src 0
		.amdhsa_exception_fp_ieee_div_zero 0
		.amdhsa_exception_fp_ieee_overflow 0
		.amdhsa_exception_fp_ieee_underflow 0
		.amdhsa_exception_fp_ieee_inexact 0
		.amdhsa_exception_int_div_zero 0
	.end_amdhsa_kernel
	.section	.text._Z6kernelI4downN15benchmark_utils11custom_typeIffEELj256ELj4ELj100EEvPKT0_PS4_,"axG",@progbits,_Z6kernelI4downN15benchmark_utils11custom_typeIffEELj256ELj4ELj100EEvPKT0_PS4_,comdat
.Lfunc_end88:
	.size	_Z6kernelI4downN15benchmark_utils11custom_typeIffEELj256ELj4ELj100EEvPKT0_PS4_, .Lfunc_end88-_Z6kernelI4downN15benchmark_utils11custom_typeIffEELj256ELj4ELj100EEvPKT0_PS4_
                                        ; -- End function
	.set _Z6kernelI4downN15benchmark_utils11custom_typeIffEELj256ELj4ELj100EEvPKT0_PS4_.num_vgpr, 14
	.set _Z6kernelI4downN15benchmark_utils11custom_typeIffEELj256ELj4ELj100EEvPKT0_PS4_.num_agpr, 0
	.set _Z6kernelI4downN15benchmark_utils11custom_typeIffEELj256ELj4ELj100EEvPKT0_PS4_.numbered_sgpr, 7
	.set _Z6kernelI4downN15benchmark_utils11custom_typeIffEELj256ELj4ELj100EEvPKT0_PS4_.num_named_barrier, 0
	.set _Z6kernelI4downN15benchmark_utils11custom_typeIffEELj256ELj4ELj100EEvPKT0_PS4_.private_seg_size, 0
	.set _Z6kernelI4downN15benchmark_utils11custom_typeIffEELj256ELj4ELj100EEvPKT0_PS4_.uses_vcc, 1
	.set _Z6kernelI4downN15benchmark_utils11custom_typeIffEELj256ELj4ELj100EEvPKT0_PS4_.uses_flat_scratch, 0
	.set _Z6kernelI4downN15benchmark_utils11custom_typeIffEELj256ELj4ELj100EEvPKT0_PS4_.has_dyn_sized_stack, 0
	.set _Z6kernelI4downN15benchmark_utils11custom_typeIffEELj256ELj4ELj100EEvPKT0_PS4_.has_recursion, 0
	.set _Z6kernelI4downN15benchmark_utils11custom_typeIffEELj256ELj4ELj100EEvPKT0_PS4_.has_indirect_call, 0
	.section	.AMDGPU.csdata,"",@progbits
; Kernel info:
; codeLenInByte = 264
; TotalNumSgprs: 9
; NumVgprs: 14
; ScratchSize: 0
; MemoryBound: 0
; FloatMode: 240
; IeeeMode: 1
; LDSByteSize: 2048 bytes/workgroup (compile time only)
; SGPRBlocks: 0
; VGPRBlocks: 0
; NumSGPRsForWavesPerEU: 9
; NumVGPRsForWavesPerEU: 14
; NamedBarCnt: 0
; Occupancy: 16
; WaveLimiterHint : 0
; COMPUTE_PGM_RSRC2:SCRATCH_EN: 0
; COMPUTE_PGM_RSRC2:USER_SGPR: 2
; COMPUTE_PGM_RSRC2:TRAP_HANDLER: 0
; COMPUTE_PGM_RSRC2:TGID_X_EN: 1
; COMPUTE_PGM_RSRC2:TGID_Y_EN: 0
; COMPUTE_PGM_RSRC2:TGID_Z_EN: 0
; COMPUTE_PGM_RSRC2:TIDIG_COMP_CNT: 0
	.section	.text._Z6kernelI4downN15benchmark_utils11custom_typeIffEELj256ELj8ELj100EEvPKT0_PS4_,"axG",@progbits,_Z6kernelI4downN15benchmark_utils11custom_typeIffEELj256ELj8ELj100EEvPKT0_PS4_,comdat
	.protected	_Z6kernelI4downN15benchmark_utils11custom_typeIffEELj256ELj8ELj100EEvPKT0_PS4_ ; -- Begin function _Z6kernelI4downN15benchmark_utils11custom_typeIffEELj256ELj8ELj100EEvPKT0_PS4_
	.globl	_Z6kernelI4downN15benchmark_utils11custom_typeIffEELj256ELj8ELj100EEvPKT0_PS4_
	.p2align	8
	.type	_Z6kernelI4downN15benchmark_utils11custom_typeIffEELj256ELj8ELj100EEvPKT0_PS4_,@function
_Z6kernelI4downN15benchmark_utils11custom_typeIffEELj256ELj8ELj100EEvPKT0_PS4_: ; @_Z6kernelI4downN15benchmark_utils11custom_typeIffEELj256ELj8ELj100EEvPKT0_PS4_
; %bb.0:
	s_load_b128 s[0:3], s[0:1], 0x0
	s_bfe_u32 s4, ttmp6, 0x4000c
	s_and_b32 s5, ttmp6, 15
	s_add_co_i32 s4, s4, 1
	s_getreg_b32 s6, hwreg(HW_REG_IB_STS2, 6, 4)
	s_mul_i32 s4, ttmp9, s4
	v_dual_lshlrev_b32 v1, 3, v0 :: v_dual_mov_b32 v23, 0
	s_add_co_i32 s5, s5, s4
	s_cmp_eq_u32 s6, 0
	v_cmp_gt_u32_e32 vcc_lo, 0xff, v0
	s_cselect_b32 s4, ttmp9, s5
	s_delay_alu instid0(SALU_CYCLE_1) | instskip(SKIP_1) | instid1(VALU_DEP_1)
	v_lshl_or_b32 v22, s4, 11, v1
	s_wait_kmcnt 0x0
	v_lshl_add_u64 v[14:15], v[22:23], 3, s[0:1]
	s_movk_i32 s0, 0x64
	s_clause 0x3
	global_load_b128 v[2:5], v[14:15], off offset:48
	global_load_b128 v[6:9], v[14:15], off offset:32
	;; [unrolled: 1-line block ×3, first 2 shown]
	global_load_b128 v[16:19], v[14:15], off
.LBB89_1:                               ; =>This Inner Loop Header: Depth=1
	s_wait_loadcnt 0x0
	v_mov_b64_e32 v[14:15], v[18:19]
	s_delay_alu instid0(VALU_DEP_3)
	v_mov_b64_e32 v[20:21], v[4:5]
	ds_store_2addr_b32 v1, v16, v17 offset1:1
	s_wait_dscnt 0x0
	s_barrier_signal -1
	s_barrier_wait -1
	s_and_saveexec_b32 s1, vcc_lo
; %bb.2:                                ;   in Loop: Header=BB89_1 Depth=1
	ds_load_2addr_b32 v[20:21], v1 offset0:2 offset1:3
; %bb.3:                                ;   in Loop: Header=BB89_1 Depth=1
	s_or_b32 exec_lo, exec_lo, s1
	s_add_co_i32 s0, s0, -1
	s_wait_dscnt 0x0
	s_cmp_lg_u32 s0, 0
	s_barrier_signal -1
	s_barrier_wait -1
	s_cbranch_scc0 .LBB89_5
; %bb.4:                                ;   in Loop: Header=BB89_1 Depth=1
	v_mov_b64_e32 v[18:19], v[10:11]
	v_mov_b64_e32 v[10:11], v[12:13]
	;; [unrolled: 1-line block ×8, first 2 shown]
	s_branch .LBB89_1
.LBB89_5:
	v_lshl_add_u64 v[22:23], v[22:23], 3, s[2:3]
	v_dual_mov_b32 v16, v10 :: v_dual_mov_b32 v17, v11
	v_dual_mov_b32 v10, v12 :: v_dual_mov_b32 v11, v13
	;; [unrolled: 1-line block ×5, first 2 shown]
	s_clause 0x3
	global_store_b128 v[22:23], v[14:17], off
	global_store_b128 v[22:23], v[10:13], off offset:16
	global_store_b128 v[22:23], v[0:3], off offset:32
	;; [unrolled: 1-line block ×3, first 2 shown]
	s_endpgm
	.section	.rodata,"a",@progbits
	.p2align	6, 0x0
	.amdhsa_kernel _Z6kernelI4downN15benchmark_utils11custom_typeIffEELj256ELj8ELj100EEvPKT0_PS4_
		.amdhsa_group_segment_fixed_size 2048
		.amdhsa_private_segment_fixed_size 0
		.amdhsa_kernarg_size 16
		.amdhsa_user_sgpr_count 2
		.amdhsa_user_sgpr_dispatch_ptr 0
		.amdhsa_user_sgpr_queue_ptr 0
		.amdhsa_user_sgpr_kernarg_segment_ptr 1
		.amdhsa_user_sgpr_dispatch_id 0
		.amdhsa_user_sgpr_kernarg_preload_length 0
		.amdhsa_user_sgpr_kernarg_preload_offset 0
		.amdhsa_user_sgpr_private_segment_size 0
		.amdhsa_wavefront_size32 1
		.amdhsa_uses_dynamic_stack 0
		.amdhsa_enable_private_segment 0
		.amdhsa_system_sgpr_workgroup_id_x 1
		.amdhsa_system_sgpr_workgroup_id_y 0
		.amdhsa_system_sgpr_workgroup_id_z 0
		.amdhsa_system_sgpr_workgroup_info 0
		.amdhsa_system_vgpr_workitem_id 0
		.amdhsa_next_free_vgpr 24
		.amdhsa_next_free_sgpr 7
		.amdhsa_named_barrier_count 0
		.amdhsa_reserve_vcc 1
		.amdhsa_float_round_mode_32 0
		.amdhsa_float_round_mode_16_64 0
		.amdhsa_float_denorm_mode_32 3
		.amdhsa_float_denorm_mode_16_64 3
		.amdhsa_fp16_overflow 0
		.amdhsa_memory_ordered 1
		.amdhsa_forward_progress 1
		.amdhsa_inst_pref_size 3
		.amdhsa_round_robin_scheduling 0
		.amdhsa_exception_fp_ieee_invalid_op 0
		.amdhsa_exception_fp_denorm_src 0
		.amdhsa_exception_fp_ieee_div_zero 0
		.amdhsa_exception_fp_ieee_overflow 0
		.amdhsa_exception_fp_ieee_underflow 0
		.amdhsa_exception_fp_ieee_inexact 0
		.amdhsa_exception_int_div_zero 0
	.end_amdhsa_kernel
	.section	.text._Z6kernelI4downN15benchmark_utils11custom_typeIffEELj256ELj8ELj100EEvPKT0_PS4_,"axG",@progbits,_Z6kernelI4downN15benchmark_utils11custom_typeIffEELj256ELj8ELj100EEvPKT0_PS4_,comdat
.Lfunc_end89:
	.size	_Z6kernelI4downN15benchmark_utils11custom_typeIffEELj256ELj8ELj100EEvPKT0_PS4_, .Lfunc_end89-_Z6kernelI4downN15benchmark_utils11custom_typeIffEELj256ELj8ELj100EEvPKT0_PS4_
                                        ; -- End function
	.set _Z6kernelI4downN15benchmark_utils11custom_typeIffEELj256ELj8ELj100EEvPKT0_PS4_.num_vgpr, 24
	.set _Z6kernelI4downN15benchmark_utils11custom_typeIffEELj256ELj8ELj100EEvPKT0_PS4_.num_agpr, 0
	.set _Z6kernelI4downN15benchmark_utils11custom_typeIffEELj256ELj8ELj100EEvPKT0_PS4_.numbered_sgpr, 7
	.set _Z6kernelI4downN15benchmark_utils11custom_typeIffEELj256ELj8ELj100EEvPKT0_PS4_.num_named_barrier, 0
	.set _Z6kernelI4downN15benchmark_utils11custom_typeIffEELj256ELj8ELj100EEvPKT0_PS4_.private_seg_size, 0
	.set _Z6kernelI4downN15benchmark_utils11custom_typeIffEELj256ELj8ELj100EEvPKT0_PS4_.uses_vcc, 1
	.set _Z6kernelI4downN15benchmark_utils11custom_typeIffEELj256ELj8ELj100EEvPKT0_PS4_.uses_flat_scratch, 0
	.set _Z6kernelI4downN15benchmark_utils11custom_typeIffEELj256ELj8ELj100EEvPKT0_PS4_.has_dyn_sized_stack, 0
	.set _Z6kernelI4downN15benchmark_utils11custom_typeIffEELj256ELj8ELj100EEvPKT0_PS4_.has_recursion, 0
	.set _Z6kernelI4downN15benchmark_utils11custom_typeIffEELj256ELj8ELj100EEvPKT0_PS4_.has_indirect_call, 0
	.section	.AMDGPU.csdata,"",@progbits
; Kernel info:
; codeLenInByte = 360
; TotalNumSgprs: 9
; NumVgprs: 24
; ScratchSize: 0
; MemoryBound: 1
; FloatMode: 240
; IeeeMode: 1
; LDSByteSize: 2048 bytes/workgroup (compile time only)
; SGPRBlocks: 0
; VGPRBlocks: 1
; NumSGPRsForWavesPerEU: 9
; NumVGPRsForWavesPerEU: 24
; NamedBarCnt: 0
; Occupancy: 16
; WaveLimiterHint : 0
; COMPUTE_PGM_RSRC2:SCRATCH_EN: 0
; COMPUTE_PGM_RSRC2:USER_SGPR: 2
; COMPUTE_PGM_RSRC2:TRAP_HANDLER: 0
; COMPUTE_PGM_RSRC2:TGID_X_EN: 1
; COMPUTE_PGM_RSRC2:TGID_Y_EN: 0
; COMPUTE_PGM_RSRC2:TGID_Z_EN: 0
; COMPUTE_PGM_RSRC2:TIDIG_COMP_CNT: 0
	.section	.text._Z6kernelI4downN15benchmark_utils11custom_typeIffEELj256ELj16ELj100EEvPKT0_PS4_,"axG",@progbits,_Z6kernelI4downN15benchmark_utils11custom_typeIffEELj256ELj16ELj100EEvPKT0_PS4_,comdat
	.protected	_Z6kernelI4downN15benchmark_utils11custom_typeIffEELj256ELj16ELj100EEvPKT0_PS4_ ; -- Begin function _Z6kernelI4downN15benchmark_utils11custom_typeIffEELj256ELj16ELj100EEvPKT0_PS4_
	.globl	_Z6kernelI4downN15benchmark_utils11custom_typeIffEELj256ELj16ELj100EEvPKT0_PS4_
	.p2align	8
	.type	_Z6kernelI4downN15benchmark_utils11custom_typeIffEELj256ELj16ELj100EEvPKT0_PS4_,@function
_Z6kernelI4downN15benchmark_utils11custom_typeIffEELj256ELj16ELj100EEvPKT0_PS4_: ; @_Z6kernelI4downN15benchmark_utils11custom_typeIffEELj256ELj16ELj100EEvPKT0_PS4_
; %bb.0:
	s_load_b128 s[0:3], s[0:1], 0x0
	s_bfe_u32 s4, ttmp6, 0x4000c
	s_and_b32 s5, ttmp6, 15
	s_add_co_i32 s4, s4, 1
	s_getreg_b32 s6, hwreg(HW_REG_IB_STS2, 6, 4)
	s_mul_i32 s4, ttmp9, s4
	v_dual_lshlrev_b32 v1, 4, v0 :: v_dual_mov_b32 v37, 0
	s_add_co_i32 s5, s5, s4
	s_cmp_eq_u32 s6, 0
	v_cmp_gt_u32_e32 vcc_lo, 0xff, v0
	s_cselect_b32 s4, ttmp9, s5
	s_delay_alu instid0(SALU_CYCLE_1) | instskip(SKIP_2) | instid1(VALU_DEP_2)
	v_lshl_or_b32 v36, s4, 12, v1
	v_lshlrev_b32_e32 v1, 3, v0
	s_wait_kmcnt 0x0
	v_lshl_add_u64 v[34:35], v[36:37], 3, s[0:1]
	s_movk_i32 s0, 0x64
	s_clause 0x7
	global_load_b128 v[2:5], v[34:35], off offset:48
	global_load_b128 v[6:9], v[34:35], off offset:32
	;; [unrolled: 1-line block ×3, first 2 shown]
	global_load_b128 v[30:33], v[34:35], off
	global_load_b128 v[10:13], v[34:35], off offset:112
	global_load_b128 v[18:21], v[34:35], off offset:96
	;; [unrolled: 1-line block ×4, first 2 shown]
.LBB90_1:                               ; =>This Inner Loop Header: Depth=1
	s_wait_loadcnt 0x4
	s_wait_xcnt 0x0
	v_mov_b64_e32 v[34:35], v[32:33]
	ds_store_2addr_b32 v1, v30, v31 offset1:1
	s_wait_loadcnt 0x3
	v_mov_b64_e32 v[30:31], v[12:13]
	s_wait_loadcnt_dscnt 0x0
	s_barrier_signal -1
	s_barrier_wait -1
	s_and_saveexec_b32 s1, vcc_lo
; %bb.2:                                ;   in Loop: Header=BB90_1 Depth=1
	ds_load_2addr_b32 v[30:31], v1 offset0:2 offset1:3
; %bb.3:                                ;   in Loop: Header=BB90_1 Depth=1
	s_or_b32 exec_lo, exec_lo, s1
	s_add_co_i32 s0, s0, -1
	s_wait_dscnt 0x0
	s_cmp_lg_u32 s0, 0
	s_barrier_signal -1
	s_barrier_wait -1
	s_cbranch_scc0 .LBB90_5
; %bb.4:                                ;   in Loop: Header=BB90_1 Depth=1
	v_mov_b64_e32 v[32:33], v[14:15]
	v_mov_b64_e32 v[14:15], v[16:17]
	;; [unrolled: 1-line block ×16, first 2 shown]
	s_branch .LBB90_1
.LBB90_5:
	v_lshl_add_u64 v[32:33], v[36:37], 3, s[2:3]
	v_dual_mov_b32 v36, v14 :: v_dual_mov_b32 v37, v15
	v_dual_mov_b32 v14, v16 :: v_dual_mov_b32 v15, v17
	;; [unrolled: 1-line block ×5, first 2 shown]
	s_clause 0x1
	global_store_b128 v[32:33], v[34:37], off
	global_store_b128 v[32:33], v[14:17], off offset:16
	s_wait_xcnt 0x0
	v_dual_mov_b32 v14, v28 :: v_dual_mov_b32 v15, v29
	v_dual_mov_b32 v16, v22 :: v_dual_mov_b32 v17, v23
	;; [unrolled: 1-line block ×6, first 2 shown]
	s_clause 0x5
	global_store_b128 v[32:33], v[0:3], off offset:32
	global_store_b128 v[32:33], v[4:7], off offset:48
	;; [unrolled: 1-line block ×6, first 2 shown]
	s_endpgm
	.section	.rodata,"a",@progbits
	.p2align	6, 0x0
	.amdhsa_kernel _Z6kernelI4downN15benchmark_utils11custom_typeIffEELj256ELj16ELj100EEvPKT0_PS4_
		.amdhsa_group_segment_fixed_size 2048
		.amdhsa_private_segment_fixed_size 0
		.amdhsa_kernarg_size 16
		.amdhsa_user_sgpr_count 2
		.amdhsa_user_sgpr_dispatch_ptr 0
		.amdhsa_user_sgpr_queue_ptr 0
		.amdhsa_user_sgpr_kernarg_segment_ptr 1
		.amdhsa_user_sgpr_dispatch_id 0
		.amdhsa_user_sgpr_kernarg_preload_length 0
		.amdhsa_user_sgpr_kernarg_preload_offset 0
		.amdhsa_user_sgpr_private_segment_size 0
		.amdhsa_wavefront_size32 1
		.amdhsa_uses_dynamic_stack 0
		.amdhsa_enable_private_segment 0
		.amdhsa_system_sgpr_workgroup_id_x 1
		.amdhsa_system_sgpr_workgroup_id_y 0
		.amdhsa_system_sgpr_workgroup_id_z 0
		.amdhsa_system_sgpr_workgroup_info 0
		.amdhsa_system_vgpr_workitem_id 0
		.amdhsa_next_free_vgpr 38
		.amdhsa_next_free_sgpr 7
		.amdhsa_named_barrier_count 0
		.amdhsa_reserve_vcc 1
		.amdhsa_float_round_mode_32 0
		.amdhsa_float_round_mode_16_64 0
		.amdhsa_float_denorm_mode_32 3
		.amdhsa_float_denorm_mode_16_64 3
		.amdhsa_fp16_overflow 0
		.amdhsa_memory_ordered 1
		.amdhsa_forward_progress 1
		.amdhsa_inst_pref_size 5
		.amdhsa_round_robin_scheduling 0
		.amdhsa_exception_fp_ieee_invalid_op 0
		.amdhsa_exception_fp_denorm_src 0
		.amdhsa_exception_fp_ieee_div_zero 0
		.amdhsa_exception_fp_ieee_overflow 0
		.amdhsa_exception_fp_ieee_underflow 0
		.amdhsa_exception_fp_ieee_inexact 0
		.amdhsa_exception_int_div_zero 0
	.end_amdhsa_kernel
	.section	.text._Z6kernelI4downN15benchmark_utils11custom_typeIffEELj256ELj16ELj100EEvPKT0_PS4_,"axG",@progbits,_Z6kernelI4downN15benchmark_utils11custom_typeIffEELj256ELj16ELj100EEvPKT0_PS4_,comdat
.Lfunc_end90:
	.size	_Z6kernelI4downN15benchmark_utils11custom_typeIffEELj256ELj16ELj100EEvPKT0_PS4_, .Lfunc_end90-_Z6kernelI4downN15benchmark_utils11custom_typeIffEELj256ELj16ELj100EEvPKT0_PS4_
                                        ; -- End function
	.set _Z6kernelI4downN15benchmark_utils11custom_typeIffEELj256ELj16ELj100EEvPKT0_PS4_.num_vgpr, 38
	.set _Z6kernelI4downN15benchmark_utils11custom_typeIffEELj256ELj16ELj100EEvPKT0_PS4_.num_agpr, 0
	.set _Z6kernelI4downN15benchmark_utils11custom_typeIffEELj256ELj16ELj100EEvPKT0_PS4_.numbered_sgpr, 7
	.set _Z6kernelI4downN15benchmark_utils11custom_typeIffEELj256ELj16ELj100EEvPKT0_PS4_.num_named_barrier, 0
	.set _Z6kernelI4downN15benchmark_utils11custom_typeIffEELj256ELj16ELj100EEvPKT0_PS4_.private_seg_size, 0
	.set _Z6kernelI4downN15benchmark_utils11custom_typeIffEELj256ELj16ELj100EEvPKT0_PS4_.uses_vcc, 1
	.set _Z6kernelI4downN15benchmark_utils11custom_typeIffEELj256ELj16ELj100EEvPKT0_PS4_.uses_flat_scratch, 0
	.set _Z6kernelI4downN15benchmark_utils11custom_typeIffEELj256ELj16ELj100EEvPKT0_PS4_.has_dyn_sized_stack, 0
	.set _Z6kernelI4downN15benchmark_utils11custom_typeIffEELj256ELj16ELj100EEvPKT0_PS4_.has_recursion, 0
	.set _Z6kernelI4downN15benchmark_utils11custom_typeIffEELj256ELj16ELj100EEvPKT0_PS4_.has_indirect_call, 0
	.section	.AMDGPU.csdata,"",@progbits
; Kernel info:
; codeLenInByte = 552
; TotalNumSgprs: 9
; NumVgprs: 38
; ScratchSize: 0
; MemoryBound: 1
; FloatMode: 240
; IeeeMode: 1
; LDSByteSize: 2048 bytes/workgroup (compile time only)
; SGPRBlocks: 0
; VGPRBlocks: 2
; NumSGPRsForWavesPerEU: 9
; NumVGPRsForWavesPerEU: 38
; NamedBarCnt: 0
; Occupancy: 16
; WaveLimiterHint : 0
; COMPUTE_PGM_RSRC2:SCRATCH_EN: 0
; COMPUTE_PGM_RSRC2:USER_SGPR: 2
; COMPUTE_PGM_RSRC2:TRAP_HANDLER: 0
; COMPUTE_PGM_RSRC2:TGID_X_EN: 1
; COMPUTE_PGM_RSRC2:TGID_Y_EN: 0
; COMPUTE_PGM_RSRC2:TGID_Z_EN: 0
; COMPUTE_PGM_RSRC2:TIDIG_COMP_CNT: 0
	.section	.text._Z6kernelI4downN15benchmark_utils11custom_typeIffEELj256ELj32ELj100EEvPKT0_PS4_,"axG",@progbits,_Z6kernelI4downN15benchmark_utils11custom_typeIffEELj256ELj32ELj100EEvPKT0_PS4_,comdat
	.protected	_Z6kernelI4downN15benchmark_utils11custom_typeIffEELj256ELj32ELj100EEvPKT0_PS4_ ; -- Begin function _Z6kernelI4downN15benchmark_utils11custom_typeIffEELj256ELj32ELj100EEvPKT0_PS4_
	.globl	_Z6kernelI4downN15benchmark_utils11custom_typeIffEELj256ELj32ELj100EEvPKT0_PS4_
	.p2align	8
	.type	_Z6kernelI4downN15benchmark_utils11custom_typeIffEELj256ELj32ELj100EEvPKT0_PS4_,@function
_Z6kernelI4downN15benchmark_utils11custom_typeIffEELj256ELj32ELj100EEvPKT0_PS4_: ; @_Z6kernelI4downN15benchmark_utils11custom_typeIffEELj256ELj32ELj100EEvPKT0_PS4_
; %bb.0:
	s_load_b128 s[0:3], s[0:1], 0x0
	s_bfe_u32 s4, ttmp6, 0x4000c
	s_and_b32 s5, ttmp6, 15
	s_add_co_i32 s4, s4, 1
	s_getreg_b32 s6, hwreg(HW_REG_IB_STS2, 6, 4)
	s_mul_i32 s4, ttmp9, s4
	v_dual_lshlrev_b32 v1, 5, v0 :: v_dual_mov_b32 v69, 0
	s_add_co_i32 s5, s5, s4
	s_cmp_eq_u32 s6, 0
	v_cmp_gt_u32_e32 vcc_lo, 0xff, v0
	s_cselect_b32 s4, ttmp9, s5
	s_delay_alu instid0(SALU_CYCLE_1) | instskip(SKIP_2) | instid1(VALU_DEP_2)
	v_lshl_or_b32 v68, s4, 13, v1
	v_lshlrev_b32_e32 v1, 3, v0
	s_wait_kmcnt 0x0
	v_lshl_add_u64 v[18:19], v[68:69], 3, s[0:1]
	s_movk_i32 s0, 0x64
	s_clause 0xf
	global_load_b128 v[50:53], v[18:19], off offset:48
	global_load_b128 v[54:57], v[18:19], off offset:32
	;; [unrolled: 1-line block ×3, first 2 shown]
	global_load_b128 v[62:65], v[18:19], off
	global_load_b128 v[30:33], v[18:19], off offset:112
	global_load_b128 v[38:41], v[18:19], off offset:96
	;; [unrolled: 1-line block ×12, first 2 shown]
.LBB91_1:                               ; =>This Inner Loop Header: Depth=1
	s_wait_loadcnt 0xc
	v_mov_b64_e32 v[66:67], v[64:65]
	ds_store_2addr_b32 v1, v62, v63 offset1:1
	s_wait_loadcnt 0x3
	v_mov_b64_e32 v[62:63], v[4:5]
	s_wait_loadcnt_dscnt 0x0
	s_barrier_signal -1
	s_barrier_wait -1
	s_and_saveexec_b32 s1, vcc_lo
; %bb.2:                                ;   in Loop: Header=BB91_1 Depth=1
	ds_load_2addr_b32 v[62:63], v1 offset0:2 offset1:3
; %bb.3:                                ;   in Loop: Header=BB91_1 Depth=1
	s_or_b32 exec_lo, exec_lo, s1
	s_add_co_i32 s0, s0, -1
	s_wait_dscnt 0x0
	s_cmp_lg_u32 s0, 0
	s_barrier_signal -1
	s_barrier_wait -1
	s_cbranch_scc0 .LBB91_5
; %bb.4:                                ;   in Loop: Header=BB91_1 Depth=1
	v_mov_b64_e32 v[64:65], v[58:59]
	v_mov_b64_e32 v[58:59], v[60:61]
	;; [unrolled: 1-line block ×32, first 2 shown]
	s_branch .LBB91_1
.LBB91_5:
	v_lshl_add_u64 v[64:65], v[68:69], 3, s[2:3]
	v_dual_mov_b32 v68, v58 :: v_dual_mov_b32 v69, v59
	v_dual_mov_b32 v58, v60 :: v_dual_mov_b32 v59, v61
	;; [unrolled: 1-line block ×28, first 2 shown]
	s_clause 0x9
	global_store_b128 v[64:65], v[66:69], off
	global_store_b128 v[64:65], v[58:61], off offset:16
	global_store_b128 v[64:65], v[54:57], off offset:32
	;; [unrolled: 1-line block ×9, first 2 shown]
	s_wait_xcnt 0x8
	v_dual_mov_b32 v60, v4 :: v_dual_mov_b32 v61, v5
	s_clause 0x5
	global_store_b128 v[64:65], v[22:25], off offset:160
	global_store_b128 v[64:65], v[14:17], off offset:176
	;; [unrolled: 1-line block ×6, first 2 shown]
	s_sendmsg sendmsg(MSG_DEALLOC_VGPRS)
	s_endpgm
	.section	.rodata,"a",@progbits
	.p2align	6, 0x0
	.amdhsa_kernel _Z6kernelI4downN15benchmark_utils11custom_typeIffEELj256ELj32ELj100EEvPKT0_PS4_
		.amdhsa_group_segment_fixed_size 2048
		.amdhsa_private_segment_fixed_size 0
		.amdhsa_kernarg_size 16
		.amdhsa_user_sgpr_count 2
		.amdhsa_user_sgpr_dispatch_ptr 0
		.amdhsa_user_sgpr_queue_ptr 0
		.amdhsa_user_sgpr_kernarg_segment_ptr 1
		.amdhsa_user_sgpr_dispatch_id 0
		.amdhsa_user_sgpr_kernarg_preload_length 0
		.amdhsa_user_sgpr_kernarg_preload_offset 0
		.amdhsa_user_sgpr_private_segment_size 0
		.amdhsa_wavefront_size32 1
		.amdhsa_uses_dynamic_stack 0
		.amdhsa_enable_private_segment 0
		.amdhsa_system_sgpr_workgroup_id_x 1
		.amdhsa_system_sgpr_workgroup_id_y 0
		.amdhsa_system_sgpr_workgroup_id_z 0
		.amdhsa_system_sgpr_workgroup_info 0
		.amdhsa_system_vgpr_workitem_id 0
		.amdhsa_next_free_vgpr 70
		.amdhsa_next_free_sgpr 7
		.amdhsa_named_barrier_count 0
		.amdhsa_reserve_vcc 1
		.amdhsa_float_round_mode_32 0
		.amdhsa_float_round_mode_16_64 0
		.amdhsa_float_denorm_mode_32 3
		.amdhsa_float_denorm_mode_16_64 3
		.amdhsa_fp16_overflow 0
		.amdhsa_memory_ordered 1
		.amdhsa_forward_progress 1
		.amdhsa_inst_pref_size 8
		.amdhsa_round_robin_scheduling 0
		.amdhsa_exception_fp_ieee_invalid_op 0
		.amdhsa_exception_fp_denorm_src 0
		.amdhsa_exception_fp_ieee_div_zero 0
		.amdhsa_exception_fp_ieee_overflow 0
		.amdhsa_exception_fp_ieee_underflow 0
		.amdhsa_exception_fp_ieee_inexact 0
		.amdhsa_exception_int_div_zero 0
	.end_amdhsa_kernel
	.section	.text._Z6kernelI4downN15benchmark_utils11custom_typeIffEELj256ELj32ELj100EEvPKT0_PS4_,"axG",@progbits,_Z6kernelI4downN15benchmark_utils11custom_typeIffEELj256ELj32ELj100EEvPKT0_PS4_,comdat
.Lfunc_end91:
	.size	_Z6kernelI4downN15benchmark_utils11custom_typeIffEELj256ELj32ELj100EEvPKT0_PS4_, .Lfunc_end91-_Z6kernelI4downN15benchmark_utils11custom_typeIffEELj256ELj32ELj100EEvPKT0_PS4_
                                        ; -- End function
	.set _Z6kernelI4downN15benchmark_utils11custom_typeIffEELj256ELj32ELj100EEvPKT0_PS4_.num_vgpr, 70
	.set _Z6kernelI4downN15benchmark_utils11custom_typeIffEELj256ELj32ELj100EEvPKT0_PS4_.num_agpr, 0
	.set _Z6kernelI4downN15benchmark_utils11custom_typeIffEELj256ELj32ELj100EEvPKT0_PS4_.numbered_sgpr, 7
	.set _Z6kernelI4downN15benchmark_utils11custom_typeIffEELj256ELj32ELj100EEvPKT0_PS4_.num_named_barrier, 0
	.set _Z6kernelI4downN15benchmark_utils11custom_typeIffEELj256ELj32ELj100EEvPKT0_PS4_.private_seg_size, 0
	.set _Z6kernelI4downN15benchmark_utils11custom_typeIffEELj256ELj32ELj100EEvPKT0_PS4_.uses_vcc, 1
	.set _Z6kernelI4downN15benchmark_utils11custom_typeIffEELj256ELj32ELj100EEvPKT0_PS4_.uses_flat_scratch, 0
	.set _Z6kernelI4downN15benchmark_utils11custom_typeIffEELj256ELj32ELj100EEvPKT0_PS4_.has_dyn_sized_stack, 0
	.set _Z6kernelI4downN15benchmark_utils11custom_typeIffEELj256ELj32ELj100EEvPKT0_PS4_.has_recursion, 0
	.set _Z6kernelI4downN15benchmark_utils11custom_typeIffEELj256ELj32ELj100EEvPKT0_PS4_.has_indirect_call, 0
	.section	.AMDGPU.csdata,"",@progbits
; Kernel info:
; codeLenInByte = 952
; TotalNumSgprs: 9
; NumVgprs: 70
; ScratchSize: 0
; MemoryBound: 1
; FloatMode: 240
; IeeeMode: 1
; LDSByteSize: 2048 bytes/workgroup (compile time only)
; SGPRBlocks: 0
; VGPRBlocks: 4
; NumSGPRsForWavesPerEU: 9
; NumVGPRsForWavesPerEU: 70
; NamedBarCnt: 0
; Occupancy: 12
; WaveLimiterHint : 0
; COMPUTE_PGM_RSRC2:SCRATCH_EN: 0
; COMPUTE_PGM_RSRC2:USER_SGPR: 2
; COMPUTE_PGM_RSRC2:TRAP_HANDLER: 0
; COMPUTE_PGM_RSRC2:TGID_X_EN: 1
; COMPUTE_PGM_RSRC2:TGID_Y_EN: 0
; COMPUTE_PGM_RSRC2:TGID_Z_EN: 0
; COMPUTE_PGM_RSRC2:TIDIG_COMP_CNT: 0
	.section	.text._Z6kernelI4downN15benchmark_utils11custom_typeIddEELj256ELj1ELj100EEvPKT0_PS4_,"axG",@progbits,_Z6kernelI4downN15benchmark_utils11custom_typeIddEELj256ELj1ELj100EEvPKT0_PS4_,comdat
	.protected	_Z6kernelI4downN15benchmark_utils11custom_typeIddEELj256ELj1ELj100EEvPKT0_PS4_ ; -- Begin function _Z6kernelI4downN15benchmark_utils11custom_typeIddEELj256ELj1ELj100EEvPKT0_PS4_
	.globl	_Z6kernelI4downN15benchmark_utils11custom_typeIddEELj256ELj1ELj100EEvPKT0_PS4_
	.p2align	8
	.type	_Z6kernelI4downN15benchmark_utils11custom_typeIddEELj256ELj1ELj100EEvPKT0_PS4_,@function
_Z6kernelI4downN15benchmark_utils11custom_typeIddEELj256ELj1ELj100EEvPKT0_PS4_: ; @_Z6kernelI4downN15benchmark_utils11custom_typeIddEELj256ELj1ELj100EEvPKT0_PS4_
; %bb.0:
	s_load_b128 s[0:3], s[0:1], 0x0
	s_bfe_u32 s4, ttmp6, 0x4000c
	s_and_b32 s5, ttmp6, 15
	s_add_co_i32 s4, s4, 1
	s_getreg_b32 s6, hwreg(HW_REG_IB_STS2, 6, 4)
	s_mul_i32 s4, ttmp9, s4
	v_dual_mov_b32 v7, 0 :: v_dual_lshlrev_b32 v1, 4, v0
	s_add_co_i32 s5, s5, s4
	s_cmp_eq_u32 s6, 0
	v_cmp_gt_u32_e32 vcc_lo, 0xff, v0
	s_cselect_b32 s4, ttmp9, s5
	s_delay_alu instid0(SALU_CYCLE_1)
	v_lshl_or_b32 v6, s4, 8, v0
	s_wait_kmcnt 0x0
	global_load_b128 v[2:5], v6, s[0:1] scale_offset
	s_wait_xcnt 0x0
	s_movk_i32 s0, 0x64
	s_branch .LBB92_2
.LBB92_1:                               ;   in Loop: Header=BB92_2 Depth=1
	s_or_b32 exec_lo, exec_lo, s1
	s_add_co_i32 s0, s0, -1
	s_wait_dscnt 0x0
	s_cmp_lg_u32 s0, 0
	s_barrier_signal -1
	s_barrier_wait -1
	s_cbranch_scc0 .LBB92_4
.LBB92_2:                               ; =>This Inner Loop Header: Depth=1
	s_wait_loadcnt 0x0
	ds_store_2addr_b64 v1, v[2:3], v[4:5] offset1:1
	s_wait_dscnt 0x0
	s_barrier_signal -1
	s_barrier_wait -1
	s_and_saveexec_b32 s1, vcc_lo
	s_cbranch_execz .LBB92_1
; %bb.3:                                ;   in Loop: Header=BB92_2 Depth=1
	ds_load_2addr_b64 v[2:5], v1 offset0:2 offset1:3
	s_branch .LBB92_1
.LBB92_4:
	v_lshl_add_u64 v[0:1], v[6:7], 4, s[2:3]
	global_store_b128 v[0:1], v[2:5], off
	s_endpgm
	.section	.rodata,"a",@progbits
	.p2align	6, 0x0
	.amdhsa_kernel _Z6kernelI4downN15benchmark_utils11custom_typeIddEELj256ELj1ELj100EEvPKT0_PS4_
		.amdhsa_group_segment_fixed_size 4096
		.amdhsa_private_segment_fixed_size 0
		.amdhsa_kernarg_size 16
		.amdhsa_user_sgpr_count 2
		.amdhsa_user_sgpr_dispatch_ptr 0
		.amdhsa_user_sgpr_queue_ptr 0
		.amdhsa_user_sgpr_kernarg_segment_ptr 1
		.amdhsa_user_sgpr_dispatch_id 0
		.amdhsa_user_sgpr_kernarg_preload_length 0
		.amdhsa_user_sgpr_kernarg_preload_offset 0
		.amdhsa_user_sgpr_private_segment_size 0
		.amdhsa_wavefront_size32 1
		.amdhsa_uses_dynamic_stack 0
		.amdhsa_enable_private_segment 0
		.amdhsa_system_sgpr_workgroup_id_x 1
		.amdhsa_system_sgpr_workgroup_id_y 0
		.amdhsa_system_sgpr_workgroup_id_z 0
		.amdhsa_system_sgpr_workgroup_info 0
		.amdhsa_system_vgpr_workitem_id 0
		.amdhsa_next_free_vgpr 8
		.amdhsa_next_free_sgpr 7
		.amdhsa_named_barrier_count 0
		.amdhsa_reserve_vcc 1
		.amdhsa_float_round_mode_32 0
		.amdhsa_float_round_mode_16_64 0
		.amdhsa_float_denorm_mode_32 3
		.amdhsa_float_denorm_mode_16_64 3
		.amdhsa_fp16_overflow 0
		.amdhsa_memory_ordered 1
		.amdhsa_forward_progress 1
		.amdhsa_inst_pref_size 2
		.amdhsa_round_robin_scheduling 0
		.amdhsa_exception_fp_ieee_invalid_op 0
		.amdhsa_exception_fp_denorm_src 0
		.amdhsa_exception_fp_ieee_div_zero 0
		.amdhsa_exception_fp_ieee_overflow 0
		.amdhsa_exception_fp_ieee_underflow 0
		.amdhsa_exception_fp_ieee_inexact 0
		.amdhsa_exception_int_div_zero 0
	.end_amdhsa_kernel
	.section	.text._Z6kernelI4downN15benchmark_utils11custom_typeIddEELj256ELj1ELj100EEvPKT0_PS4_,"axG",@progbits,_Z6kernelI4downN15benchmark_utils11custom_typeIddEELj256ELj1ELj100EEvPKT0_PS4_,comdat
.Lfunc_end92:
	.size	_Z6kernelI4downN15benchmark_utils11custom_typeIddEELj256ELj1ELj100EEvPKT0_PS4_, .Lfunc_end92-_Z6kernelI4downN15benchmark_utils11custom_typeIddEELj256ELj1ELj100EEvPKT0_PS4_
                                        ; -- End function
	.set _Z6kernelI4downN15benchmark_utils11custom_typeIddEELj256ELj1ELj100EEvPKT0_PS4_.num_vgpr, 8
	.set _Z6kernelI4downN15benchmark_utils11custom_typeIddEELj256ELj1ELj100EEvPKT0_PS4_.num_agpr, 0
	.set _Z6kernelI4downN15benchmark_utils11custom_typeIddEELj256ELj1ELj100EEvPKT0_PS4_.numbered_sgpr, 7
	.set _Z6kernelI4downN15benchmark_utils11custom_typeIddEELj256ELj1ELj100EEvPKT0_PS4_.num_named_barrier, 0
	.set _Z6kernelI4downN15benchmark_utils11custom_typeIddEELj256ELj1ELj100EEvPKT0_PS4_.private_seg_size, 0
	.set _Z6kernelI4downN15benchmark_utils11custom_typeIddEELj256ELj1ELj100EEvPKT0_PS4_.uses_vcc, 1
	.set _Z6kernelI4downN15benchmark_utils11custom_typeIddEELj256ELj1ELj100EEvPKT0_PS4_.uses_flat_scratch, 0
	.set _Z6kernelI4downN15benchmark_utils11custom_typeIddEELj256ELj1ELj100EEvPKT0_PS4_.has_dyn_sized_stack, 0
	.set _Z6kernelI4downN15benchmark_utils11custom_typeIddEELj256ELj1ELj100EEvPKT0_PS4_.has_recursion, 0
	.set _Z6kernelI4downN15benchmark_utils11custom_typeIddEELj256ELj1ELj100EEvPKT0_PS4_.has_indirect_call, 0
	.section	.AMDGPU.csdata,"",@progbits
; Kernel info:
; codeLenInByte = 200
; TotalNumSgprs: 9
; NumVgprs: 8
; ScratchSize: 0
; MemoryBound: 0
; FloatMode: 240
; IeeeMode: 1
; LDSByteSize: 4096 bytes/workgroup (compile time only)
; SGPRBlocks: 0
; VGPRBlocks: 0
; NumSGPRsForWavesPerEU: 9
; NumVGPRsForWavesPerEU: 8
; NamedBarCnt: 0
; Occupancy: 16
; WaveLimiterHint : 0
; COMPUTE_PGM_RSRC2:SCRATCH_EN: 0
; COMPUTE_PGM_RSRC2:USER_SGPR: 2
; COMPUTE_PGM_RSRC2:TRAP_HANDLER: 0
; COMPUTE_PGM_RSRC2:TGID_X_EN: 1
; COMPUTE_PGM_RSRC2:TGID_Y_EN: 0
; COMPUTE_PGM_RSRC2:TGID_Z_EN: 0
; COMPUTE_PGM_RSRC2:TIDIG_COMP_CNT: 0
	.section	.text._Z6kernelI4downN15benchmark_utils11custom_typeIddEELj256ELj3ELj100EEvPKT0_PS4_,"axG",@progbits,_Z6kernelI4downN15benchmark_utils11custom_typeIddEELj256ELj3ELj100EEvPKT0_PS4_,comdat
	.protected	_Z6kernelI4downN15benchmark_utils11custom_typeIddEELj256ELj3ELj100EEvPKT0_PS4_ ; -- Begin function _Z6kernelI4downN15benchmark_utils11custom_typeIddEELj256ELj3ELj100EEvPKT0_PS4_
	.globl	_Z6kernelI4downN15benchmark_utils11custom_typeIddEELj256ELj3ELj100EEvPKT0_PS4_
	.p2align	8
	.type	_Z6kernelI4downN15benchmark_utils11custom_typeIddEELj256ELj3ELj100EEvPKT0_PS4_,@function
_Z6kernelI4downN15benchmark_utils11custom_typeIddEELj256ELj3ELj100EEvPKT0_PS4_: ; @_Z6kernelI4downN15benchmark_utils11custom_typeIddEELj256ELj3ELj100EEvPKT0_PS4_
; %bb.0:
	s_bfe_u32 s4, ttmp6, 0x4000c
	s_load_b128 s[0:3], s[0:1], 0x0
	s_add_co_i32 s4, s4, 1
	s_and_b32 s5, ttmp6, 15
	s_mul_i32 s4, ttmp9, s4
	s_getreg_b32 s6, hwreg(HW_REG_IB_STS2, 6, 4)
	s_add_co_i32 s5, s5, s4
	s_cmp_eq_u32 s6, 0
	v_dual_mov_b32 v15, 0 :: v_dual_lshlrev_b32 v20, 4, v0
	s_cselect_b32 s4, ttmp9, s5
	v_cmp_gt_u32_e32 vcc_lo, 0xff, v0
	v_lshl_or_b32 v1, s4, 8, v0
	s_delay_alu instid0(VALU_DEP_3) | instskip(NEXT) | instid1(VALU_DEP_2)
	v_dual_mov_b32 v17, v15 :: v_dual_mov_b32 v19, v15
	v_lshl_add_u32 v14, v1, 1, v1
	s_wait_kmcnt 0x0
	global_load_b128 v[2:5], v14, s[0:1] scale_offset
	v_dual_add_nc_u32 v16, 1, v14 :: v_dual_add_nc_u32 v18, 2, v14
	s_clause 0x1
	global_load_b128 v[6:9], v16, s[0:1] scale_offset
	global_load_b128 v[10:13], v18, s[0:1] scale_offset
	s_wait_xcnt 0x0
	s_movk_i32 s0, 0x64
	s_wait_loadcnt 0x2
	v_mov_b64_e32 v[0:1], v[2:3]
.LBB93_1:                               ; =>This Inner Loop Header: Depth=1
	v_mov_b64_e32 v[22:23], v[4:5]
	s_wait_loadcnt 0x1
	v_mov_b64_e32 v[2:3], v[6:7]
	v_mov_b64_e32 v[4:5], v[8:9]
	s_wait_loadcnt 0x0
	v_mov_b64_e32 v[8:9], v[12:13]
	v_mov_b64_e32 v[6:7], v[10:11]
	ds_store_2addr_b64 v20, v[0:1], v[22:23] offset1:1
	s_wait_dscnt 0x0
	s_barrier_signal -1
	s_barrier_wait -1
	s_and_saveexec_b32 s1, vcc_lo
; %bb.2:                                ;   in Loop: Header=BB93_1 Depth=1
	ds_load_2addr_b64 v[10:13], v20 offset0:2 offset1:3
; %bb.3:                                ;   in Loop: Header=BB93_1 Depth=1
	s_or_b32 exec_lo, exec_lo, s1
	s_add_co_i32 s0, s0, -1
	s_wait_dscnt 0x0
	s_cmp_lg_u32 s0, 0
	s_barrier_signal -1
	s_barrier_wait -1
	s_cbranch_scc0 .LBB93_5
; %bb.4:                                ;   in Loop: Header=BB93_1 Depth=1
	v_mov_b64_e32 v[0:1], v[2:3]
	s_branch .LBB93_1
.LBB93_5:
	v_lshl_add_u64 v[0:1], v[14:15], 4, s[2:3]
	v_lshl_add_u64 v[14:15], v[16:17], 4, s[2:3]
	;; [unrolled: 1-line block ×3, first 2 shown]
	s_clause 0x2
	global_store_b128 v[0:1], v[2:5], off
	global_store_b128 v[14:15], v[6:9], off
	;; [unrolled: 1-line block ×3, first 2 shown]
	s_endpgm
	.section	.rodata,"a",@progbits
	.p2align	6, 0x0
	.amdhsa_kernel _Z6kernelI4downN15benchmark_utils11custom_typeIddEELj256ELj3ELj100EEvPKT0_PS4_
		.amdhsa_group_segment_fixed_size 4096
		.amdhsa_private_segment_fixed_size 0
		.amdhsa_kernarg_size 16
		.amdhsa_user_sgpr_count 2
		.amdhsa_user_sgpr_dispatch_ptr 0
		.amdhsa_user_sgpr_queue_ptr 0
		.amdhsa_user_sgpr_kernarg_segment_ptr 1
		.amdhsa_user_sgpr_dispatch_id 0
		.amdhsa_user_sgpr_kernarg_preload_length 0
		.amdhsa_user_sgpr_kernarg_preload_offset 0
		.amdhsa_user_sgpr_private_segment_size 0
		.amdhsa_wavefront_size32 1
		.amdhsa_uses_dynamic_stack 0
		.amdhsa_enable_private_segment 0
		.amdhsa_system_sgpr_workgroup_id_x 1
		.amdhsa_system_sgpr_workgroup_id_y 0
		.amdhsa_system_sgpr_workgroup_id_z 0
		.amdhsa_system_sgpr_workgroup_info 0
		.amdhsa_system_vgpr_workitem_id 0
		.amdhsa_next_free_vgpr 24
		.amdhsa_next_free_sgpr 7
		.amdhsa_named_barrier_count 0
		.amdhsa_reserve_vcc 1
		.amdhsa_float_round_mode_32 0
		.amdhsa_float_round_mode_16_64 0
		.amdhsa_float_denorm_mode_32 3
		.amdhsa_float_denorm_mode_16_64 3
		.amdhsa_fp16_overflow 0
		.amdhsa_memory_ordered 1
		.amdhsa_forward_progress 1
		.amdhsa_inst_pref_size 3
		.amdhsa_round_robin_scheduling 0
		.amdhsa_exception_fp_ieee_invalid_op 0
		.amdhsa_exception_fp_denorm_src 0
		.amdhsa_exception_fp_ieee_div_zero 0
		.amdhsa_exception_fp_ieee_overflow 0
		.amdhsa_exception_fp_ieee_underflow 0
		.amdhsa_exception_fp_ieee_inexact 0
		.amdhsa_exception_int_div_zero 0
	.end_amdhsa_kernel
	.section	.text._Z6kernelI4downN15benchmark_utils11custom_typeIddEELj256ELj3ELj100EEvPKT0_PS4_,"axG",@progbits,_Z6kernelI4downN15benchmark_utils11custom_typeIddEELj256ELj3ELj100EEvPKT0_PS4_,comdat
.Lfunc_end93:
	.size	_Z6kernelI4downN15benchmark_utils11custom_typeIddEELj256ELj3ELj100EEvPKT0_PS4_, .Lfunc_end93-_Z6kernelI4downN15benchmark_utils11custom_typeIddEELj256ELj3ELj100EEvPKT0_PS4_
                                        ; -- End function
	.set _Z6kernelI4downN15benchmark_utils11custom_typeIddEELj256ELj3ELj100EEvPKT0_PS4_.num_vgpr, 24
	.set _Z6kernelI4downN15benchmark_utils11custom_typeIddEELj256ELj3ELj100EEvPKT0_PS4_.num_agpr, 0
	.set _Z6kernelI4downN15benchmark_utils11custom_typeIddEELj256ELj3ELj100EEvPKT0_PS4_.numbered_sgpr, 7
	.set _Z6kernelI4downN15benchmark_utils11custom_typeIddEELj256ELj3ELj100EEvPKT0_PS4_.num_named_barrier, 0
	.set _Z6kernelI4downN15benchmark_utils11custom_typeIddEELj256ELj3ELj100EEvPKT0_PS4_.private_seg_size, 0
	.set _Z6kernelI4downN15benchmark_utils11custom_typeIddEELj256ELj3ELj100EEvPKT0_PS4_.uses_vcc, 1
	.set _Z6kernelI4downN15benchmark_utils11custom_typeIddEELj256ELj3ELj100EEvPKT0_PS4_.uses_flat_scratch, 0
	.set _Z6kernelI4downN15benchmark_utils11custom_typeIddEELj256ELj3ELj100EEvPKT0_PS4_.has_dyn_sized_stack, 0
	.set _Z6kernelI4downN15benchmark_utils11custom_typeIddEELj256ELj3ELj100EEvPKT0_PS4_.has_recursion, 0
	.set _Z6kernelI4downN15benchmark_utils11custom_typeIddEELj256ELj3ELj100EEvPKT0_PS4_.has_indirect_call, 0
	.section	.AMDGPU.csdata,"",@progbits
; Kernel info:
; codeLenInByte = 328
; TotalNumSgprs: 9
; NumVgprs: 24
; ScratchSize: 0
; MemoryBound: 0
; FloatMode: 240
; IeeeMode: 1
; LDSByteSize: 4096 bytes/workgroup (compile time only)
; SGPRBlocks: 0
; VGPRBlocks: 1
; NumSGPRsForWavesPerEU: 9
; NumVGPRsForWavesPerEU: 24
; NamedBarCnt: 0
; Occupancy: 16
; WaveLimiterHint : 0
; COMPUTE_PGM_RSRC2:SCRATCH_EN: 0
; COMPUTE_PGM_RSRC2:USER_SGPR: 2
; COMPUTE_PGM_RSRC2:TRAP_HANDLER: 0
; COMPUTE_PGM_RSRC2:TGID_X_EN: 1
; COMPUTE_PGM_RSRC2:TGID_Y_EN: 0
; COMPUTE_PGM_RSRC2:TGID_Z_EN: 0
; COMPUTE_PGM_RSRC2:TIDIG_COMP_CNT: 0
	.section	.text._Z6kernelI4downN15benchmark_utils11custom_typeIddEELj256ELj4ELj100EEvPKT0_PS4_,"axG",@progbits,_Z6kernelI4downN15benchmark_utils11custom_typeIddEELj256ELj4ELj100EEvPKT0_PS4_,comdat
	.protected	_Z6kernelI4downN15benchmark_utils11custom_typeIddEELj256ELj4ELj100EEvPKT0_PS4_ ; -- Begin function _Z6kernelI4downN15benchmark_utils11custom_typeIddEELj256ELj4ELj100EEvPKT0_PS4_
	.globl	_Z6kernelI4downN15benchmark_utils11custom_typeIddEELj256ELj4ELj100EEvPKT0_PS4_
	.p2align	8
	.type	_Z6kernelI4downN15benchmark_utils11custom_typeIddEELj256ELj4ELj100EEvPKT0_PS4_,@function
_Z6kernelI4downN15benchmark_utils11custom_typeIddEELj256ELj4ELj100EEvPKT0_PS4_: ; @_Z6kernelI4downN15benchmark_utils11custom_typeIddEELj256ELj4ELj100EEvPKT0_PS4_
; %bb.0:
	s_load_b128 s[0:3], s[0:1], 0x0
	s_bfe_u32 s4, ttmp6, 0x4000c
	s_and_b32 s5, ttmp6, 15
	s_add_co_i32 s4, s4, 1
	s_getreg_b32 s6, hwreg(HW_REG_IB_STS2, 6, 4)
	s_mul_i32 s4, ttmp9, s4
	v_dual_lshlrev_b32 v1, 2, v0 :: v_dual_mov_b32 v19, 0
	s_add_co_i32 s5, s5, s4
	s_cmp_eq_u32 s6, 0
	v_lshlrev_b32_e32 v20, 4, v0
	s_cselect_b32 s4, ttmp9, s5
	v_cmp_gt_u32_e32 vcc_lo, 0xff, v0
	v_lshl_or_b32 v18, s4, 10, v1
	s_wait_kmcnt 0x0
	s_clause 0x3
	global_load_b128 v[14:17], v18, s[0:1] scale_offset
	global_load_b128 v[6:9], v18, s[0:1] offset:16 scale_offset
	global_load_b128 v[10:13], v18, s[0:1] offset:48 scale_offset
	;; [unrolled: 1-line block ×3, first 2 shown]
	s_wait_xcnt 0x0
	s_movk_i32 s0, 0x64
	s_wait_loadcnt 0x3
	v_mov_b64_e32 v[0:1], v[14:15]
.LBB94_1:                               ; =>This Inner Loop Header: Depth=1
	v_mov_b64_e32 v[22:23], v[16:17]
	s_wait_loadcnt 0x2
	v_mov_b64_e32 v[14:15], v[6:7]
	v_mov_b64_e32 v[16:17], v[8:9]
	s_wait_loadcnt 0x0
	v_mov_b64_e32 v[6:7], v[2:3]
	v_mov_b64_e32 v[8:9], v[4:5]
	;; [unrolled: 1-line block ×4, first 2 shown]
	ds_store_2addr_b64 v20, v[0:1], v[22:23] offset1:1
	s_wait_dscnt 0x0
	s_barrier_signal -1
	s_barrier_wait -1
	s_and_saveexec_b32 s1, vcc_lo
; %bb.2:                                ;   in Loop: Header=BB94_1 Depth=1
	ds_load_2addr_b64 v[10:13], v20 offset0:2 offset1:3
; %bb.3:                                ;   in Loop: Header=BB94_1 Depth=1
	s_or_b32 exec_lo, exec_lo, s1
	s_add_co_i32 s0, s0, -1
	s_wait_dscnt 0x0
	s_cmp_lg_u32 s0, 0
	s_barrier_signal -1
	s_barrier_wait -1
	s_cbranch_scc0 .LBB94_5
; %bb.4:                                ;   in Loop: Header=BB94_1 Depth=1
	v_mov_b64_e32 v[0:1], v[14:15]
	s_branch .LBB94_1
.LBB94_5:
	v_lshl_add_u64 v[0:1], v[18:19], 4, s[2:3]
	s_clause 0x3
	global_store_b128 v[0:1], v[14:17], off
	global_store_b128 v[0:1], v[6:9], off offset:16
	global_store_b128 v[0:1], v[2:5], off offset:32
	;; [unrolled: 1-line block ×3, first 2 shown]
	s_endpgm
	.section	.rodata,"a",@progbits
	.p2align	6, 0x0
	.amdhsa_kernel _Z6kernelI4downN15benchmark_utils11custom_typeIddEELj256ELj4ELj100EEvPKT0_PS4_
		.amdhsa_group_segment_fixed_size 4096
		.amdhsa_private_segment_fixed_size 0
		.amdhsa_kernarg_size 16
		.amdhsa_user_sgpr_count 2
		.amdhsa_user_sgpr_dispatch_ptr 0
		.amdhsa_user_sgpr_queue_ptr 0
		.amdhsa_user_sgpr_kernarg_segment_ptr 1
		.amdhsa_user_sgpr_dispatch_id 0
		.amdhsa_user_sgpr_kernarg_preload_length 0
		.amdhsa_user_sgpr_kernarg_preload_offset 0
		.amdhsa_user_sgpr_private_segment_size 0
		.amdhsa_wavefront_size32 1
		.amdhsa_uses_dynamic_stack 0
		.amdhsa_enable_private_segment 0
		.amdhsa_system_sgpr_workgroup_id_x 1
		.amdhsa_system_sgpr_workgroup_id_y 0
		.amdhsa_system_sgpr_workgroup_id_z 0
		.amdhsa_system_sgpr_workgroup_info 0
		.amdhsa_system_vgpr_workitem_id 0
		.amdhsa_next_free_vgpr 24
		.amdhsa_next_free_sgpr 7
		.amdhsa_named_barrier_count 0
		.amdhsa_reserve_vcc 1
		.amdhsa_float_round_mode_32 0
		.amdhsa_float_round_mode_16_64 0
		.amdhsa_float_denorm_mode_32 3
		.amdhsa_float_denorm_mode_16_64 3
		.amdhsa_fp16_overflow 0
		.amdhsa_memory_ordered 1
		.amdhsa_forward_progress 1
		.amdhsa_inst_pref_size 3
		.amdhsa_round_robin_scheduling 0
		.amdhsa_exception_fp_ieee_invalid_op 0
		.amdhsa_exception_fp_denorm_src 0
		.amdhsa_exception_fp_ieee_div_zero 0
		.amdhsa_exception_fp_ieee_overflow 0
		.amdhsa_exception_fp_ieee_underflow 0
		.amdhsa_exception_fp_ieee_inexact 0
		.amdhsa_exception_int_div_zero 0
	.end_amdhsa_kernel
	.section	.text._Z6kernelI4downN15benchmark_utils11custom_typeIddEELj256ELj4ELj100EEvPKT0_PS4_,"axG",@progbits,_Z6kernelI4downN15benchmark_utils11custom_typeIddEELj256ELj4ELj100EEvPKT0_PS4_,comdat
.Lfunc_end94:
	.size	_Z6kernelI4downN15benchmark_utils11custom_typeIddEELj256ELj4ELj100EEvPKT0_PS4_, .Lfunc_end94-_Z6kernelI4downN15benchmark_utils11custom_typeIddEELj256ELj4ELj100EEvPKT0_PS4_
                                        ; -- End function
	.set _Z6kernelI4downN15benchmark_utils11custom_typeIddEELj256ELj4ELj100EEvPKT0_PS4_.num_vgpr, 24
	.set _Z6kernelI4downN15benchmark_utils11custom_typeIddEELj256ELj4ELj100EEvPKT0_PS4_.num_agpr, 0
	.set _Z6kernelI4downN15benchmark_utils11custom_typeIddEELj256ELj4ELj100EEvPKT0_PS4_.numbered_sgpr, 7
	.set _Z6kernelI4downN15benchmark_utils11custom_typeIddEELj256ELj4ELj100EEvPKT0_PS4_.num_named_barrier, 0
	.set _Z6kernelI4downN15benchmark_utils11custom_typeIddEELj256ELj4ELj100EEvPKT0_PS4_.private_seg_size, 0
	.set _Z6kernelI4downN15benchmark_utils11custom_typeIddEELj256ELj4ELj100EEvPKT0_PS4_.uses_vcc, 1
	.set _Z6kernelI4downN15benchmark_utils11custom_typeIddEELj256ELj4ELj100EEvPKT0_PS4_.uses_flat_scratch, 0
	.set _Z6kernelI4downN15benchmark_utils11custom_typeIddEELj256ELj4ELj100EEvPKT0_PS4_.has_dyn_sized_stack, 0
	.set _Z6kernelI4downN15benchmark_utils11custom_typeIddEELj256ELj4ELj100EEvPKT0_PS4_.has_recursion, 0
	.set _Z6kernelI4downN15benchmark_utils11custom_typeIddEELj256ELj4ELj100EEvPKT0_PS4_.has_indirect_call, 0
	.section	.AMDGPU.csdata,"",@progbits
; Kernel info:
; codeLenInByte = 316
; TotalNumSgprs: 9
; NumVgprs: 24
; ScratchSize: 0
; MemoryBound: 1
; FloatMode: 240
; IeeeMode: 1
; LDSByteSize: 4096 bytes/workgroup (compile time only)
; SGPRBlocks: 0
; VGPRBlocks: 1
; NumSGPRsForWavesPerEU: 9
; NumVGPRsForWavesPerEU: 24
; NamedBarCnt: 0
; Occupancy: 16
; WaveLimiterHint : 0
; COMPUTE_PGM_RSRC2:SCRATCH_EN: 0
; COMPUTE_PGM_RSRC2:USER_SGPR: 2
; COMPUTE_PGM_RSRC2:TRAP_HANDLER: 0
; COMPUTE_PGM_RSRC2:TGID_X_EN: 1
; COMPUTE_PGM_RSRC2:TGID_Y_EN: 0
; COMPUTE_PGM_RSRC2:TGID_Z_EN: 0
; COMPUTE_PGM_RSRC2:TIDIG_COMP_CNT: 0
	.section	.text._Z6kernelI4downN15benchmark_utils11custom_typeIddEELj256ELj8ELj100EEvPKT0_PS4_,"axG",@progbits,_Z6kernelI4downN15benchmark_utils11custom_typeIddEELj256ELj8ELj100EEvPKT0_PS4_,comdat
	.protected	_Z6kernelI4downN15benchmark_utils11custom_typeIddEELj256ELj8ELj100EEvPKT0_PS4_ ; -- Begin function _Z6kernelI4downN15benchmark_utils11custom_typeIddEELj256ELj8ELj100EEvPKT0_PS4_
	.globl	_Z6kernelI4downN15benchmark_utils11custom_typeIddEELj256ELj8ELj100EEvPKT0_PS4_
	.p2align	8
	.type	_Z6kernelI4downN15benchmark_utils11custom_typeIddEELj256ELj8ELj100EEvPKT0_PS4_,@function
_Z6kernelI4downN15benchmark_utils11custom_typeIddEELj256ELj8ELj100EEvPKT0_PS4_: ; @_Z6kernelI4downN15benchmark_utils11custom_typeIddEELj256ELj8ELj100EEvPKT0_PS4_
; %bb.0:
	s_load_b128 s[0:3], s[0:1], 0x0
	s_bfe_u32 s4, ttmp6, 0x4000c
	s_and_b32 s5, ttmp6, 15
	s_add_co_i32 s4, s4, 1
	s_getreg_b32 s6, hwreg(HW_REG_IB_STS2, 6, 4)
	s_mul_i32 s4, ttmp9, s4
	v_dual_lshlrev_b32 v1, 3, v0 :: v_dual_mov_b32 v35, 0
	s_add_co_i32 s5, s5, s4
	s_cmp_eq_u32 s6, 0
	v_lshlrev_b32_e32 v36, 4, v0
	s_cselect_b32 s4, ttmp9, s5
	v_cmp_gt_u32_e32 vcc_lo, 0xff, v0
	v_lshl_or_b32 v34, s4, 11, v1
	s_wait_kmcnt 0x0
	s_clause 0x7
	global_load_b128 v[10:13], v34, s[0:1] offset:16 scale_offset
	global_load_b128 v[18:21], v34, s[0:1] scale_offset
	global_load_b128 v[2:5], v34, s[0:1] offset:48 scale_offset
	global_load_b128 v[6:9], v34, s[0:1] offset:32 scale_offset
	;; [unrolled: 1-line block ×6, first 2 shown]
	s_wait_xcnt 0x0
	s_movk_i32 s0, 0x64
	s_wait_loadcnt 0x6
	v_mov_b64_e32 v[0:1], v[18:19]
.LBB95_1:                               ; =>This Inner Loop Header: Depth=1
	v_mov_b64_e32 v[38:39], v[20:21]
	v_mov_b64_e32 v[18:19], v[10:11]
	;; [unrolled: 1-line block ×3, first 2 shown]
	s_wait_loadcnt 0x4
	v_mov_b64_e32 v[10:11], v[6:7]
	v_mov_b64_e32 v[12:13], v[8:9]
	;; [unrolled: 1-line block ×4, first 2 shown]
	s_wait_loadcnt 0x0
	v_mov_b64_e32 v[2:3], v[30:31]
	v_mov_b64_e32 v[4:5], v[32:33]
	;; [unrolled: 1-line block ×8, first 2 shown]
	ds_store_2addr_b64 v36, v[0:1], v[38:39] offset1:1
	s_wait_dscnt 0x0
	s_barrier_signal -1
	s_barrier_wait -1
	s_and_saveexec_b32 s1, vcc_lo
; %bb.2:                                ;   in Loop: Header=BB95_1 Depth=1
	ds_load_2addr_b64 v[26:29], v36 offset0:2 offset1:3
; %bb.3:                                ;   in Loop: Header=BB95_1 Depth=1
	s_or_b32 exec_lo, exec_lo, s1
	s_add_co_i32 s0, s0, -1
	s_wait_dscnt 0x0
	s_cmp_lg_u32 s0, 0
	s_barrier_signal -1
	s_barrier_wait -1
	s_cbranch_scc0 .LBB95_5
; %bb.4:                                ;   in Loop: Header=BB95_1 Depth=1
	v_mov_b64_e32 v[0:1], v[18:19]
	s_branch .LBB95_1
.LBB95_5:
	v_lshl_add_u64 v[0:1], v[34:35], 4, s[2:3]
	s_clause 0x7
	global_store_b128 v[0:1], v[18:21], off
	global_store_b128 v[0:1], v[10:13], off offset:16
	global_store_b128 v[0:1], v[6:9], off offset:32
	;; [unrolled: 1-line block ×7, first 2 shown]
	s_endpgm
	.section	.rodata,"a",@progbits
	.p2align	6, 0x0
	.amdhsa_kernel _Z6kernelI4downN15benchmark_utils11custom_typeIddEELj256ELj8ELj100EEvPKT0_PS4_
		.amdhsa_group_segment_fixed_size 4096
		.amdhsa_private_segment_fixed_size 0
		.amdhsa_kernarg_size 16
		.amdhsa_user_sgpr_count 2
		.amdhsa_user_sgpr_dispatch_ptr 0
		.amdhsa_user_sgpr_queue_ptr 0
		.amdhsa_user_sgpr_kernarg_segment_ptr 1
		.amdhsa_user_sgpr_dispatch_id 0
		.amdhsa_user_sgpr_kernarg_preload_length 0
		.amdhsa_user_sgpr_kernarg_preload_offset 0
		.amdhsa_user_sgpr_private_segment_size 0
		.amdhsa_wavefront_size32 1
		.amdhsa_uses_dynamic_stack 0
		.amdhsa_enable_private_segment 0
		.amdhsa_system_sgpr_workgroup_id_x 1
		.amdhsa_system_sgpr_workgroup_id_y 0
		.amdhsa_system_sgpr_workgroup_id_z 0
		.amdhsa_system_sgpr_workgroup_info 0
		.amdhsa_system_vgpr_workitem_id 0
		.amdhsa_next_free_vgpr 40
		.amdhsa_next_free_sgpr 7
		.amdhsa_named_barrier_count 0
		.amdhsa_reserve_vcc 1
		.amdhsa_float_round_mode_32 0
		.amdhsa_float_round_mode_16_64 0
		.amdhsa_float_denorm_mode_32 3
		.amdhsa_float_denorm_mode_16_64 3
		.amdhsa_fp16_overflow 0
		.amdhsa_memory_ordered 1
		.amdhsa_forward_progress 1
		.amdhsa_inst_pref_size 4
		.amdhsa_round_robin_scheduling 0
		.amdhsa_exception_fp_ieee_invalid_op 0
		.amdhsa_exception_fp_denorm_src 0
		.amdhsa_exception_fp_ieee_div_zero 0
		.amdhsa_exception_fp_ieee_overflow 0
		.amdhsa_exception_fp_ieee_underflow 0
		.amdhsa_exception_fp_ieee_inexact 0
		.amdhsa_exception_int_div_zero 0
	.end_amdhsa_kernel
	.section	.text._Z6kernelI4downN15benchmark_utils11custom_typeIddEELj256ELj8ELj100EEvPKT0_PS4_,"axG",@progbits,_Z6kernelI4downN15benchmark_utils11custom_typeIddEELj256ELj8ELj100EEvPKT0_PS4_,comdat
.Lfunc_end95:
	.size	_Z6kernelI4downN15benchmark_utils11custom_typeIddEELj256ELj8ELj100EEvPKT0_PS4_, .Lfunc_end95-_Z6kernelI4downN15benchmark_utils11custom_typeIddEELj256ELj8ELj100EEvPKT0_PS4_
                                        ; -- End function
	.set _Z6kernelI4downN15benchmark_utils11custom_typeIddEELj256ELj8ELj100EEvPKT0_PS4_.num_vgpr, 40
	.set _Z6kernelI4downN15benchmark_utils11custom_typeIddEELj256ELj8ELj100EEvPKT0_PS4_.num_agpr, 0
	.set _Z6kernelI4downN15benchmark_utils11custom_typeIddEELj256ELj8ELj100EEvPKT0_PS4_.numbered_sgpr, 7
	.set _Z6kernelI4downN15benchmark_utils11custom_typeIddEELj256ELj8ELj100EEvPKT0_PS4_.num_named_barrier, 0
	.set _Z6kernelI4downN15benchmark_utils11custom_typeIddEELj256ELj8ELj100EEvPKT0_PS4_.private_seg_size, 0
	.set _Z6kernelI4downN15benchmark_utils11custom_typeIddEELj256ELj8ELj100EEvPKT0_PS4_.uses_vcc, 1
	.set _Z6kernelI4downN15benchmark_utils11custom_typeIddEELj256ELj8ELj100EEvPKT0_PS4_.uses_flat_scratch, 0
	.set _Z6kernelI4downN15benchmark_utils11custom_typeIddEELj256ELj8ELj100EEvPKT0_PS4_.has_dyn_sized_stack, 0
	.set _Z6kernelI4downN15benchmark_utils11custom_typeIddEELj256ELj8ELj100EEvPKT0_PS4_.has_recursion, 0
	.set _Z6kernelI4downN15benchmark_utils11custom_typeIddEELj256ELj8ELj100EEvPKT0_PS4_.has_indirect_call, 0
	.section	.AMDGPU.csdata,"",@progbits
; Kernel info:
; codeLenInByte = 444
; TotalNumSgprs: 9
; NumVgprs: 40
; ScratchSize: 0
; MemoryBound: 1
; FloatMode: 240
; IeeeMode: 1
; LDSByteSize: 4096 bytes/workgroup (compile time only)
; SGPRBlocks: 0
; VGPRBlocks: 2
; NumSGPRsForWavesPerEU: 9
; NumVGPRsForWavesPerEU: 40
; NamedBarCnt: 0
; Occupancy: 16
; WaveLimiterHint : 0
; COMPUTE_PGM_RSRC2:SCRATCH_EN: 0
; COMPUTE_PGM_RSRC2:USER_SGPR: 2
; COMPUTE_PGM_RSRC2:TRAP_HANDLER: 0
; COMPUTE_PGM_RSRC2:TGID_X_EN: 1
; COMPUTE_PGM_RSRC2:TGID_Y_EN: 0
; COMPUTE_PGM_RSRC2:TGID_Z_EN: 0
; COMPUTE_PGM_RSRC2:TIDIG_COMP_CNT: 0
	.section	.text._Z6kernelI4downN15benchmark_utils11custom_typeIddEELj256ELj16ELj100EEvPKT0_PS4_,"axG",@progbits,_Z6kernelI4downN15benchmark_utils11custom_typeIddEELj256ELj16ELj100EEvPKT0_PS4_,comdat
	.protected	_Z6kernelI4downN15benchmark_utils11custom_typeIddEELj256ELj16ELj100EEvPKT0_PS4_ ; -- Begin function _Z6kernelI4downN15benchmark_utils11custom_typeIddEELj256ELj16ELj100EEvPKT0_PS4_
	.globl	_Z6kernelI4downN15benchmark_utils11custom_typeIddEELj256ELj16ELj100EEvPKT0_PS4_
	.p2align	8
	.type	_Z6kernelI4downN15benchmark_utils11custom_typeIddEELj256ELj16ELj100EEvPKT0_PS4_,@function
_Z6kernelI4downN15benchmark_utils11custom_typeIddEELj256ELj16ELj100EEvPKT0_PS4_: ; @_Z6kernelI4downN15benchmark_utils11custom_typeIddEELj256ELj16ELj100EEvPKT0_PS4_
; %bb.0:
	s_load_b128 s[0:3], s[0:1], 0x0
	s_bfe_u32 s4, ttmp6, 0x4000c
	s_and_b32 s5, ttmp6, 15
	s_add_co_i32 s4, s4, 1
	s_getreg_b32 s6, hwreg(HW_REG_IB_STS2, 6, 4)
	s_mul_i32 s4, ttmp9, s4
	v_dual_mov_b32 v67, 0 :: v_dual_lshlrev_b32 v68, 4, v0
	s_add_co_i32 s5, s5, s4
	s_cmp_eq_u32 s6, 0
	v_cmp_gt_u32_e32 vcc_lo, 0xff, v0
	s_cselect_b32 s4, ttmp9, s5
	s_delay_alu instid0(SALU_CYCLE_1)
	v_lshl_or_b32 v66, s4, 12, v68
	s_wait_kmcnt 0x0
	s_clause 0xf
	global_load_b128 v[2:5], v66, s[0:1] scale_offset
	global_load_b128 v[62:65], v66, s[0:1] offset:16 scale_offset
	global_load_b128 v[50:53], v66, s[0:1] offset:48 scale_offset
	;; [unrolled: 1-line block ×15, first 2 shown]
	s_wait_xcnt 0x0
	s_movk_i32 s0, 0x64
	s_wait_loadcnt 0xf
	v_mov_b64_e32 v[0:1], v[2:3]
.LBB96_1:                               ; =>This Inner Loop Header: Depth=1
	v_mov_b64_e32 v[70:71], v[4:5]
	s_wait_loadcnt 0xe
	v_mov_b64_e32 v[2:3], v[62:63]
	v_mov_b64_e32 v[4:5], v[64:65]
	s_wait_loadcnt 0xc
	v_mov_b64_e32 v[62:63], v[58:59]
	v_mov_b64_e32 v[64:65], v[60:61]
	v_mov_b64_e32 v[58:59], v[50:51]
	v_mov_b64_e32 v[60:61], v[52:53]
	s_wait_loadcnt 0x8
	v_mov_b64_e32 v[50:51], v[46:47]
	v_mov_b64_e32 v[52:53], v[48:49]
	v_mov_b64_e32 v[46:47], v[34:35]
	v_mov_b64_e32 v[48:49], v[36:37]
	v_mov_b64_e32 v[34:35], v[26:27]
	v_mov_b64_e32 v[36:37], v[28:29]
	v_mov_b64_e32 v[26:27], v[18:19]
	v_mov_b64_e32 v[28:29], v[20:21]
	s_wait_loadcnt 0x4
	v_mov_b64_e32 v[18:19], v[22:23]
	v_mov_b64_e32 v[20:21], v[24:25]
	v_mov_b64_e32 v[22:23], v[14:15]
	v_mov_b64_e32 v[24:25], v[16:17]
	;; [unrolled: 9-line block ×3, first 2 shown]
	v_mov_b64_e32 v[38:39], v[30:31]
	v_mov_b64_e32 v[40:41], v[32:33]
	;; [unrolled: 1-line block ×4, first 2 shown]
	ds_store_2addr_b64 v68, v[0:1], v[70:71] offset1:1
	s_wait_dscnt 0x0
	s_barrier_signal -1
	s_barrier_wait -1
	s_and_saveexec_b32 s1, vcc_lo
; %bb.2:                                ;   in Loop: Header=BB96_1 Depth=1
	ds_load_2addr_b64 v[42:45], v68 offset0:2 offset1:3
; %bb.3:                                ;   in Loop: Header=BB96_1 Depth=1
	s_or_b32 exec_lo, exec_lo, s1
	s_add_co_i32 s0, s0, -1
	s_wait_dscnt 0x0
	s_cmp_lg_u32 s0, 0
	s_barrier_signal -1
	s_barrier_wait -1
	s_cbranch_scc0 .LBB96_5
; %bb.4:                                ;   in Loop: Header=BB96_1 Depth=1
	v_mov_b64_e32 v[0:1], v[2:3]
	s_branch .LBB96_1
.LBB96_5:
	v_lshl_add_u64 v[0:1], v[66:67], 4, s[2:3]
	s_clause 0xf
	global_store_b128 v[0:1], v[2:5], off
	global_store_b128 v[0:1], v[62:65], off offset:16
	global_store_b128 v[0:1], v[58:61], off offset:32
	global_store_b128 v[0:1], v[50:53], off offset:48
	global_store_b128 v[0:1], v[46:49], off offset:64
	global_store_b128 v[0:1], v[34:37], off offset:80
	global_store_b128 v[0:1], v[26:29], off offset:96
	global_store_b128 v[0:1], v[18:21], off offset:112
	global_store_b128 v[0:1], v[22:25], off offset:128
	global_store_b128 v[0:1], v[14:17], off offset:144
	global_store_b128 v[0:1], v[10:13], off offset:160
	global_store_b128 v[0:1], v[6:9], off offset:176
	global_store_b128 v[0:1], v[54:57], off offset:192
	global_store_b128 v[0:1], v[38:41], off offset:208
	global_store_b128 v[0:1], v[30:33], off offset:224
	global_store_b128 v[0:1], v[42:45], off offset:240
	s_sendmsg sendmsg(MSG_DEALLOC_VGPRS)
	s_endpgm
	.section	.rodata,"a",@progbits
	.p2align	6, 0x0
	.amdhsa_kernel _Z6kernelI4downN15benchmark_utils11custom_typeIddEELj256ELj16ELj100EEvPKT0_PS4_
		.amdhsa_group_segment_fixed_size 4096
		.amdhsa_private_segment_fixed_size 0
		.amdhsa_kernarg_size 16
		.amdhsa_user_sgpr_count 2
		.amdhsa_user_sgpr_dispatch_ptr 0
		.amdhsa_user_sgpr_queue_ptr 0
		.amdhsa_user_sgpr_kernarg_segment_ptr 1
		.amdhsa_user_sgpr_dispatch_id 0
		.amdhsa_user_sgpr_kernarg_preload_length 0
		.amdhsa_user_sgpr_kernarg_preload_offset 0
		.amdhsa_user_sgpr_private_segment_size 0
		.amdhsa_wavefront_size32 1
		.amdhsa_uses_dynamic_stack 0
		.amdhsa_enable_private_segment 0
		.amdhsa_system_sgpr_workgroup_id_x 1
		.amdhsa_system_sgpr_workgroup_id_y 0
		.amdhsa_system_sgpr_workgroup_id_z 0
		.amdhsa_system_sgpr_workgroup_info 0
		.amdhsa_system_vgpr_workitem_id 0
		.amdhsa_next_free_vgpr 72
		.amdhsa_next_free_sgpr 7
		.amdhsa_named_barrier_count 0
		.amdhsa_reserve_vcc 1
		.amdhsa_float_round_mode_32 0
		.amdhsa_float_round_mode_16_64 0
		.amdhsa_float_denorm_mode_32 3
		.amdhsa_float_denorm_mode_16_64 3
		.amdhsa_fp16_overflow 0
		.amdhsa_memory_ordered 1
		.amdhsa_forward_progress 1
		.amdhsa_inst_pref_size 6
		.amdhsa_round_robin_scheduling 0
		.amdhsa_exception_fp_ieee_invalid_op 0
		.amdhsa_exception_fp_denorm_src 0
		.amdhsa_exception_fp_ieee_div_zero 0
		.amdhsa_exception_fp_ieee_overflow 0
		.amdhsa_exception_fp_ieee_underflow 0
		.amdhsa_exception_fp_ieee_inexact 0
		.amdhsa_exception_int_div_zero 0
	.end_amdhsa_kernel
	.section	.text._Z6kernelI4downN15benchmark_utils11custom_typeIddEELj256ELj16ELj100EEvPKT0_PS4_,"axG",@progbits,_Z6kernelI4downN15benchmark_utils11custom_typeIddEELj256ELj16ELj100EEvPKT0_PS4_,comdat
.Lfunc_end96:
	.size	_Z6kernelI4downN15benchmark_utils11custom_typeIddEELj256ELj16ELj100EEvPKT0_PS4_, .Lfunc_end96-_Z6kernelI4downN15benchmark_utils11custom_typeIddEELj256ELj16ELj100EEvPKT0_PS4_
                                        ; -- End function
	.set _Z6kernelI4downN15benchmark_utils11custom_typeIddEELj256ELj16ELj100EEvPKT0_PS4_.num_vgpr, 72
	.set _Z6kernelI4downN15benchmark_utils11custom_typeIddEELj256ELj16ELj100EEvPKT0_PS4_.num_agpr, 0
	.set _Z6kernelI4downN15benchmark_utils11custom_typeIddEELj256ELj16ELj100EEvPKT0_PS4_.numbered_sgpr, 7
	.set _Z6kernelI4downN15benchmark_utils11custom_typeIddEELj256ELj16ELj100EEvPKT0_PS4_.num_named_barrier, 0
	.set _Z6kernelI4downN15benchmark_utils11custom_typeIddEELj256ELj16ELj100EEvPKT0_PS4_.private_seg_size, 0
	.set _Z6kernelI4downN15benchmark_utils11custom_typeIddEELj256ELj16ELj100EEvPKT0_PS4_.uses_vcc, 1
	.set _Z6kernelI4downN15benchmark_utils11custom_typeIddEELj256ELj16ELj100EEvPKT0_PS4_.uses_flat_scratch, 0
	.set _Z6kernelI4downN15benchmark_utils11custom_typeIddEELj256ELj16ELj100EEvPKT0_PS4_.has_dyn_sized_stack, 0
	.set _Z6kernelI4downN15benchmark_utils11custom_typeIddEELj256ELj16ELj100EEvPKT0_PS4_.has_recursion, 0
	.set _Z6kernelI4downN15benchmark_utils11custom_typeIddEELj256ELj16ELj100EEvPKT0_PS4_.has_indirect_call, 0
	.section	.AMDGPU.csdata,"",@progbits
; Kernel info:
; codeLenInByte = 712
; TotalNumSgprs: 9
; NumVgprs: 72
; ScratchSize: 0
; MemoryBound: 1
; FloatMode: 240
; IeeeMode: 1
; LDSByteSize: 4096 bytes/workgroup (compile time only)
; SGPRBlocks: 0
; VGPRBlocks: 4
; NumSGPRsForWavesPerEU: 9
; NumVGPRsForWavesPerEU: 72
; NamedBarCnt: 0
; Occupancy: 12
; WaveLimiterHint : 0
; COMPUTE_PGM_RSRC2:SCRATCH_EN: 0
; COMPUTE_PGM_RSRC2:USER_SGPR: 2
; COMPUTE_PGM_RSRC2:TRAP_HANDLER: 0
; COMPUTE_PGM_RSRC2:TGID_X_EN: 1
; COMPUTE_PGM_RSRC2:TGID_Y_EN: 0
; COMPUTE_PGM_RSRC2:TGID_Z_EN: 0
; COMPUTE_PGM_RSRC2:TIDIG_COMP_CNT: 0
	.section	.text._Z6kernelI4downN15benchmark_utils11custom_typeIddEELj256ELj32ELj100EEvPKT0_PS4_,"axG",@progbits,_Z6kernelI4downN15benchmark_utils11custom_typeIddEELj256ELj32ELj100EEvPKT0_PS4_,comdat
	.protected	_Z6kernelI4downN15benchmark_utils11custom_typeIddEELj256ELj32ELj100EEvPKT0_PS4_ ; -- Begin function _Z6kernelI4downN15benchmark_utils11custom_typeIddEELj256ELj32ELj100EEvPKT0_PS4_
	.globl	_Z6kernelI4downN15benchmark_utils11custom_typeIddEELj256ELj32ELj100EEvPKT0_PS4_
	.p2align	8
	.type	_Z6kernelI4downN15benchmark_utils11custom_typeIddEELj256ELj32ELj100EEvPKT0_PS4_,@function
_Z6kernelI4downN15benchmark_utils11custom_typeIddEELj256ELj32ELj100EEvPKT0_PS4_: ; @_Z6kernelI4downN15benchmark_utils11custom_typeIddEELj256ELj32ELj100EEvPKT0_PS4_
; %bb.0:
	s_load_b128 s[0:3], s[0:1], 0x0
	s_bfe_u32 s4, ttmp6, 0x4000c
	s_and_b32 s5, ttmp6, 15
	s_add_co_i32 s4, s4, 1
	s_getreg_b32 s6, hwreg(HW_REG_IB_STS2, 6, 4)
	s_mul_i32 s4, ttmp9, s4
	v_dual_lshlrev_b32 v1, 5, v0 :: v_dual_mov_b32 v131, 0
	s_add_co_i32 s5, s5, s4
	s_cmp_eq_u32 s6, 0
	v_lshlrev_b32_e32 v132, 4, v0
	s_cselect_b32 s4, ttmp9, s5
	v_cmp_gt_u32_e32 vcc_lo, 0xff, v0
	v_lshl_or_b32 v130, s4, 13, v1
	s_wait_kmcnt 0x0
	s_clause 0x1f
	global_load_b128 v[2:5], v130, s[0:1] scale_offset
	global_load_b128 v[110:113], v130, s[0:1] offset:16 scale_offset
	global_load_b128 v[94:97], v130, s[0:1] offset:48 scale_offset
	;; [unrolled: 1-line block ×31, first 2 shown]
	s_wait_xcnt 0x0
	s_movk_i32 s0, 0x64
	s_wait_loadcnt 0x1f
	v_mov_b64_e32 v[0:1], v[2:3]
.LBB97_1:                               ; =>This Inner Loop Header: Depth=1
	v_mov_b64_e32 v[134:135], v[4:5]
	s_wait_loadcnt 0x1e
	v_mov_b64_e32 v[2:3], v[110:111]
	v_mov_b64_e32 v[4:5], v[112:113]
	s_wait_loadcnt 0x1c
	v_mov_b64_e32 v[110:111], v[106:107]
	v_mov_b64_e32 v[112:113], v[108:109]
	v_mov_b64_e32 v[106:107], v[94:95]
	v_mov_b64_e32 v[108:109], v[96:97]
	s_wait_loadcnt 0x18
	v_mov_b64_e32 v[94:95], v[90:91]
	v_mov_b64_e32 v[96:97], v[92:93]
	v_mov_b64_e32 v[90:91], v[78:79]
	v_mov_b64_e32 v[92:93], v[80:81]
	v_mov_b64_e32 v[78:79], v[70:71]
	v_mov_b64_e32 v[80:81], v[72:73]
	v_mov_b64_e32 v[70:71], v[54:55]
	v_mov_b64_e32 v[72:73], v[56:57]
	s_wait_loadcnt 0x14
	v_mov_b64_e32 v[54:55], v[62:63]
	v_mov_b64_e32 v[56:57], v[64:65]
	v_mov_b64_e32 v[62:63], v[46:47]
	v_mov_b64_e32 v[64:65], v[48:49]
	v_mov_b64_e32 v[46:47], v[38:39]
	v_mov_b64_e32 v[48:49], v[40:41]
	v_mov_b64_e32 v[38:39], v[26:27]
	v_mov_b64_e32 v[40:41], v[28:29]
	s_wait_loadcnt 0x10
	v_mov_b64_e32 v[26:27], v[126:127]
	v_mov_b64_e32 v[28:29], v[128:129]
	v_mov_b64_e32 v[126:127], v[122:123]
	v_mov_b64_e32 v[128:129], v[124:125]
	v_mov_b64_e32 v[122:123], v[10:11]
	v_mov_b64_e32 v[124:125], v[12:13]
	v_mov_b64_e32 v[10:11], v[6:7]
	v_mov_b64_e32 v[12:13], v[8:9]
	s_wait_loadcnt 0xc
	v_mov_b64_e32 v[6:7], v[118:119]
	v_mov_b64_e32 v[8:9], v[120:121]
	v_mov_b64_e32 v[118:119], v[114:115]
	v_mov_b64_e32 v[120:121], v[116:117]
	v_mov_b64_e32 v[114:115], v[102:103]
	v_mov_b64_e32 v[116:117], v[104:105]
	v_mov_b64_e32 v[102:103], v[86:87]
	v_mov_b64_e32 v[104:105], v[88:89]
	s_wait_loadcnt 0x8
	v_mov_b64_e32 v[86:87], v[98:99]
	v_mov_b64_e32 v[88:89], v[100:101]
	v_mov_b64_e32 v[98:99], v[82:83]
	v_mov_b64_e32 v[100:101], v[84:85]
	v_mov_b64_e32 v[82:83], v[74:75]
	v_mov_b64_e32 v[84:85], v[76:77]
	v_mov_b64_e32 v[74:75], v[58:59]
	v_mov_b64_e32 v[76:77], v[60:61]
	s_wait_loadcnt 0x4
	v_mov_b64_e32 v[58:59], v[66:67]
	v_mov_b64_e32 v[60:61], v[68:69]
	v_mov_b64_e32 v[66:67], v[50:51]
	v_mov_b64_e32 v[68:69], v[52:53]
	v_mov_b64_e32 v[50:51], v[42:43]
	v_mov_b64_e32 v[52:53], v[44:45]
	v_mov_b64_e32 v[42:43], v[30:31]
	v_mov_b64_e32 v[44:45], v[32:33]
	s_wait_loadcnt 0x0
	v_mov_b64_e32 v[30:31], v[34:35]
	v_mov_b64_e32 v[32:33], v[36:37]
	v_mov_b64_e32 v[34:35], v[18:19]
	v_mov_b64_e32 v[36:37], v[20:21]
	v_mov_b64_e32 v[18:19], v[14:15]
	v_mov_b64_e32 v[20:21], v[16:17]
	;; [unrolled: 1-line block ×4, first 2 shown]
	ds_store_2addr_b64 v132, v[0:1], v[134:135] offset1:1
	s_wait_dscnt 0x0
	s_barrier_signal -1
	s_barrier_wait -1
	s_and_saveexec_b32 s1, vcc_lo
; %bb.2:                                ;   in Loop: Header=BB97_1 Depth=1
	ds_load_2addr_b64 v[22:25], v132 offset0:2 offset1:3
; %bb.3:                                ;   in Loop: Header=BB97_1 Depth=1
	s_or_b32 exec_lo, exec_lo, s1
	s_add_co_i32 s0, s0, -1
	s_wait_dscnt 0x0
	s_cmp_lg_u32 s0, 0
	s_barrier_signal -1
	s_barrier_wait -1
	s_cbranch_scc0 .LBB97_5
; %bb.4:                                ;   in Loop: Header=BB97_1 Depth=1
	v_mov_b64_e32 v[0:1], v[2:3]
	s_branch .LBB97_1
.LBB97_5:
	v_lshl_add_u64 v[0:1], v[130:131], 4, s[2:3]
	s_clause 0x1f
	global_store_b128 v[0:1], v[2:5], off
	global_store_b128 v[0:1], v[110:113], off offset:16
	global_store_b128 v[0:1], v[106:109], off offset:32
	;; [unrolled: 1-line block ×31, first 2 shown]
	s_sendmsg sendmsg(MSG_DEALLOC_VGPRS)
	s_endpgm
	.section	.rodata,"a",@progbits
	.p2align	6, 0x0
	.amdhsa_kernel _Z6kernelI4downN15benchmark_utils11custom_typeIddEELj256ELj32ELj100EEvPKT0_PS4_
		.amdhsa_group_segment_fixed_size 4096
		.amdhsa_private_segment_fixed_size 0
		.amdhsa_kernarg_size 16
		.amdhsa_user_sgpr_count 2
		.amdhsa_user_sgpr_dispatch_ptr 0
		.amdhsa_user_sgpr_queue_ptr 0
		.amdhsa_user_sgpr_kernarg_segment_ptr 1
		.amdhsa_user_sgpr_dispatch_id 0
		.amdhsa_user_sgpr_kernarg_preload_length 0
		.amdhsa_user_sgpr_kernarg_preload_offset 0
		.amdhsa_user_sgpr_private_segment_size 0
		.amdhsa_wavefront_size32 1
		.amdhsa_uses_dynamic_stack 0
		.amdhsa_enable_private_segment 0
		.amdhsa_system_sgpr_workgroup_id_x 1
		.amdhsa_system_sgpr_workgroup_id_y 0
		.amdhsa_system_sgpr_workgroup_id_z 0
		.amdhsa_system_sgpr_workgroup_info 0
		.amdhsa_system_vgpr_workitem_id 0
		.amdhsa_next_free_vgpr 136
		.amdhsa_next_free_sgpr 7
		.amdhsa_named_barrier_count 0
		.amdhsa_reserve_vcc 1
		.amdhsa_float_round_mode_32 0
		.amdhsa_float_round_mode_16_64 0
		.amdhsa_float_denorm_mode_32 3
		.amdhsa_float_denorm_mode_16_64 3
		.amdhsa_fp16_overflow 0
		.amdhsa_memory_ordered 1
		.amdhsa_forward_progress 1
		.amdhsa_inst_pref_size 10
		.amdhsa_round_robin_scheduling 0
		.amdhsa_exception_fp_ieee_invalid_op 0
		.amdhsa_exception_fp_denorm_src 0
		.amdhsa_exception_fp_ieee_div_zero 0
		.amdhsa_exception_fp_ieee_overflow 0
		.amdhsa_exception_fp_ieee_underflow 0
		.amdhsa_exception_fp_ieee_inexact 0
		.amdhsa_exception_int_div_zero 0
	.end_amdhsa_kernel
	.section	.text._Z6kernelI4downN15benchmark_utils11custom_typeIddEELj256ELj32ELj100EEvPKT0_PS4_,"axG",@progbits,_Z6kernelI4downN15benchmark_utils11custom_typeIddEELj256ELj32ELj100EEvPKT0_PS4_,comdat
.Lfunc_end97:
	.size	_Z6kernelI4downN15benchmark_utils11custom_typeIddEELj256ELj32ELj100EEvPKT0_PS4_, .Lfunc_end97-_Z6kernelI4downN15benchmark_utils11custom_typeIddEELj256ELj32ELj100EEvPKT0_PS4_
                                        ; -- End function
	.set _Z6kernelI4downN15benchmark_utils11custom_typeIddEELj256ELj32ELj100EEvPKT0_PS4_.num_vgpr, 136
	.set _Z6kernelI4downN15benchmark_utils11custom_typeIddEELj256ELj32ELj100EEvPKT0_PS4_.num_agpr, 0
	.set _Z6kernelI4downN15benchmark_utils11custom_typeIddEELj256ELj32ELj100EEvPKT0_PS4_.numbered_sgpr, 7
	.set _Z6kernelI4downN15benchmark_utils11custom_typeIddEELj256ELj32ELj100EEvPKT0_PS4_.num_named_barrier, 0
	.set _Z6kernelI4downN15benchmark_utils11custom_typeIddEELj256ELj32ELj100EEvPKT0_PS4_.private_seg_size, 0
	.set _Z6kernelI4downN15benchmark_utils11custom_typeIddEELj256ELj32ELj100EEvPKT0_PS4_.uses_vcc, 1
	.set _Z6kernelI4downN15benchmark_utils11custom_typeIddEELj256ELj32ELj100EEvPKT0_PS4_.uses_flat_scratch, 0
	.set _Z6kernelI4downN15benchmark_utils11custom_typeIddEELj256ELj32ELj100EEvPKT0_PS4_.has_dyn_sized_stack, 0
	.set _Z6kernelI4downN15benchmark_utils11custom_typeIddEELj256ELj32ELj100EEvPKT0_PS4_.has_recursion, 0
	.set _Z6kernelI4downN15benchmark_utils11custom_typeIddEELj256ELj32ELj100EEvPKT0_PS4_.has_indirect_call, 0
	.section	.AMDGPU.csdata,"",@progbits
; Kernel info:
; codeLenInByte = 1244
; TotalNumSgprs: 9
; NumVgprs: 136
; ScratchSize: 0
; MemoryBound: 1
; FloatMode: 240
; IeeeMode: 1
; LDSByteSize: 4096 bytes/workgroup (compile time only)
; SGPRBlocks: 0
; VGPRBlocks: 8
; NumSGPRsForWavesPerEU: 9
; NumVGPRsForWavesPerEU: 136
; NamedBarCnt: 0
; Occupancy: 7
; WaveLimiterHint : 0
; COMPUTE_PGM_RSRC2:SCRATCH_EN: 0
; COMPUTE_PGM_RSRC2:USER_SGPR: 2
; COMPUTE_PGM_RSRC2:TRAP_HANDLER: 0
; COMPUTE_PGM_RSRC2:TGID_X_EN: 1
; COMPUTE_PGM_RSRC2:TGID_Y_EN: 0
; COMPUTE_PGM_RSRC2:TGID_Z_EN: 0
; COMPUTE_PGM_RSRC2:TIDIG_COMP_CNT: 0
	.section	.AMDGPU.gpr_maximums,"",@progbits
	.set amdgpu.max_num_vgpr, 0
	.set amdgpu.max_num_agpr, 0
	.set amdgpu.max_num_sgpr, 0
	.section	.AMDGPU.csdata,"",@progbits
	.type	__hip_cuid_b09ed41d07bf8f41,@object ; @__hip_cuid_b09ed41d07bf8f41
	.section	.bss,"aw",@nobits
	.globl	__hip_cuid_b09ed41d07bf8f41
__hip_cuid_b09ed41d07bf8f41:
	.byte	0                               ; 0x0
	.size	__hip_cuid_b09ed41d07bf8f41, 1

	.ident	"AMD clang version 22.0.0git (https://github.com/RadeonOpenCompute/llvm-project roc-7.2.4 26084 f58b06dce1f9c15707c5f808fd002e18c2accf7e)"
	.section	".note.GNU-stack","",@progbits
	.addrsig
	.addrsig_sym __hip_cuid_b09ed41d07bf8f41
	.amdgpu_metadata
---
amdhsa.kernels:
  - .args:
      - .address_space:  global
        .offset:         0
        .size:           8
        .value_kind:     global_buffer
      - .address_space:  global
        .offset:         8
        .size:           8
        .value_kind:     global_buffer
    .group_segment_fixed_size: 1024
    .kernarg_segment_align: 8
    .kernarg_segment_size: 16
    .language:       OpenCL C
    .language_version:
      - 2
      - 0
    .max_flat_workgroup_size: 256
    .name:           _Z6kernelI6offsetiLj256ELj1ELj100EEvPKT0_PS1_
    .private_segment_fixed_size: 0
    .sgpr_count:     9
    .sgpr_spill_count: 0
    .symbol:         _Z6kernelI6offsetiLj256ELj1ELj100EEvPKT0_PS1_.kd
    .uniform_work_group_size: 1
    .uses_dynamic_stack: false
    .vgpr_count:     5
    .vgpr_spill_count: 0
    .wavefront_size: 32
  - .args:
      - .address_space:  global
        .offset:         0
        .size:           8
        .value_kind:     global_buffer
      - .address_space:  global
        .offset:         8
        .size:           8
        .value_kind:     global_buffer
    .group_segment_fixed_size: 1024
    .kernarg_segment_align: 8
    .kernarg_segment_size: 16
    .language:       OpenCL C
    .language_version:
      - 2
      - 0
    .max_flat_workgroup_size: 256
    .name:           _Z6kernelI6offsetfLj256ELj1ELj100EEvPKT0_PS1_
    .private_segment_fixed_size: 0
    .sgpr_count:     9
    .sgpr_spill_count: 0
    .symbol:         _Z6kernelI6offsetfLj256ELj1ELj100EEvPKT0_PS1_.kd
    .uniform_work_group_size: 1
    .uses_dynamic_stack: false
    .vgpr_count:     5
    .vgpr_spill_count: 0
    .wavefront_size: 32
  - .args:
      - .address_space:  global
        .offset:         0
        .size:           8
        .value_kind:     global_buffer
      - .address_space:  global
        .offset:         8
        .size:           8
        .value_kind:     global_buffer
    .group_segment_fixed_size: 2048
    .kernarg_segment_align: 8
    .kernarg_segment_size: 16
    .language:       OpenCL C
    .language_version:
      - 2
      - 0
    .max_flat_workgroup_size: 256
    .name:           _Z6kernelI6offsetdLj256ELj1ELj100EEvPKT0_PS1_
    .private_segment_fixed_size: 0
    .sgpr_count:     9
    .sgpr_spill_count: 0
    .symbol:         _Z6kernelI6offsetdLj256ELj1ELj100EEvPKT0_PS1_.kd
    .uniform_work_group_size: 1
    .uses_dynamic_stack: false
    .vgpr_count:     6
    .vgpr_spill_count: 0
    .wavefront_size: 32
  - .args:
      - .address_space:  global
        .offset:         0
        .size:           8
        .value_kind:     global_buffer
      - .address_space:  global
        .offset:         8
        .size:           8
        .value_kind:     global_buffer
    .group_segment_fixed_size: 256
    .kernarg_segment_align: 8
    .kernarg_segment_size: 16
    .language:       OpenCL C
    .language_version:
      - 2
      - 0
    .max_flat_workgroup_size: 256
    .name:           _Z6kernelI6offsetaLj256ELj1ELj100EEvPKT0_PS1_
    .private_segment_fixed_size: 0
    .sgpr_count:     9
    .sgpr_spill_count: 0
    .symbol:         _Z6kernelI6offsetaLj256ELj1ELj100EEvPKT0_PS1_.kd
    .uniform_work_group_size: 1
    .uses_dynamic_stack: false
    .vgpr_count:     4
    .vgpr_spill_count: 0
    .wavefront_size: 32
  - .args:
      - .address_space:  global
        .offset:         0
        .size:           8
        .value_kind:     global_buffer
      - .address_space:  global
        .offset:         8
        .size:           8
        .value_kind:     global_buffer
    .group_segment_fixed_size: 2048
    .kernarg_segment_align: 8
    .kernarg_segment_size: 16
    .language:       OpenCL C
    .language_version:
      - 2
      - 0
    .max_flat_workgroup_size: 256
    .name:           _Z6kernelI6offsetxLj256ELj1ELj100EEvPKT0_PS1_
    .private_segment_fixed_size: 0
    .sgpr_count:     9
    .sgpr_spill_count: 0
    .symbol:         _Z6kernelI6offsetxLj256ELj1ELj100EEvPKT0_PS1_.kd
    .uniform_work_group_size: 1
    .uses_dynamic_stack: false
    .vgpr_count:     6
    .vgpr_spill_count: 0
    .wavefront_size: 32
  - .args:
      - .address_space:  global
        .offset:         0
        .size:           8
        .value_kind:     global_buffer
      - .address_space:  global
        .offset:         8
        .size:           8
        .value_kind:     global_buffer
    .group_segment_fixed_size: 2048
    .kernarg_segment_align: 8
    .kernarg_segment_size: 16
    .language:       OpenCL C
    .language_version:
      - 2
      - 0
    .max_flat_workgroup_size: 256
    .name:           _Z6kernelI6offsetN15benchmark_utils11custom_typeIffEELj256ELj1ELj100EEvPKT0_PS4_
    .private_segment_fixed_size: 0
    .sgpr_count:     9
    .sgpr_spill_count: 0
    .symbol:         _Z6kernelI6offsetN15benchmark_utils11custom_typeIffEELj256ELj1ELj100EEvPKT0_PS4_.kd
    .uniform_work_group_size: 1
    .uses_dynamic_stack: false
    .vgpr_count:     6
    .vgpr_spill_count: 0
    .wavefront_size: 32
  - .args:
      - .address_space:  global
        .offset:         0
        .size:           8
        .value_kind:     global_buffer
      - .address_space:  global
        .offset:         8
        .size:           8
        .value_kind:     global_buffer
    .group_segment_fixed_size: 4096
    .kernarg_segment_align: 8
    .kernarg_segment_size: 16
    .language:       OpenCL C
    .language_version:
      - 2
      - 0
    .max_flat_workgroup_size: 256
    .name:           _Z6kernelI6offsetN15benchmark_utils11custom_typeIddEELj256ELj1ELj100EEvPKT0_PS4_
    .private_segment_fixed_size: 0
    .sgpr_count:     9
    .sgpr_spill_count: 0
    .symbol:         _Z6kernelI6offsetN15benchmark_utils11custom_typeIddEELj256ELj1ELj100EEvPKT0_PS4_.kd
    .uniform_work_group_size: 1
    .uses_dynamic_stack: false
    .vgpr_count:     8
    .vgpr_spill_count: 0
    .wavefront_size: 32
  - .args:
      - .address_space:  global
        .offset:         0
        .size:           8
        .value_kind:     global_buffer
      - .address_space:  global
        .offset:         8
        .size:           8
        .value_kind:     global_buffer
    .group_segment_fixed_size: 1024
    .kernarg_segment_align: 8
    .kernarg_segment_size: 16
    .language:       OpenCL C
    .language_version:
      - 2
      - 0
    .max_flat_workgroup_size: 256
    .name:           _Z6kernelI6rotateiLj256ELj1ELj100EEvPKT0_PS1_
    .private_segment_fixed_size: 0
    .sgpr_count:     9
    .sgpr_spill_count: 0
    .symbol:         _Z6kernelI6rotateiLj256ELj1ELj100EEvPKT0_PS1_.kd
    .uniform_work_group_size: 1
    .uses_dynamic_stack: false
    .vgpr_count:     6
    .vgpr_spill_count: 0
    .wavefront_size: 32
  - .args:
      - .address_space:  global
        .offset:         0
        .size:           8
        .value_kind:     global_buffer
      - .address_space:  global
        .offset:         8
        .size:           8
        .value_kind:     global_buffer
    .group_segment_fixed_size: 1024
    .kernarg_segment_align: 8
    .kernarg_segment_size: 16
    .language:       OpenCL C
    .language_version:
      - 2
      - 0
    .max_flat_workgroup_size: 256
    .name:           _Z6kernelI6rotatefLj256ELj1ELj100EEvPKT0_PS1_
    .private_segment_fixed_size: 0
    .sgpr_count:     9
    .sgpr_spill_count: 0
    .symbol:         _Z6kernelI6rotatefLj256ELj1ELj100EEvPKT0_PS1_.kd
    .uniform_work_group_size: 1
    .uses_dynamic_stack: false
    .vgpr_count:     6
    .vgpr_spill_count: 0
    .wavefront_size: 32
  - .args:
      - .address_space:  global
        .offset:         0
        .size:           8
        .value_kind:     global_buffer
      - .address_space:  global
        .offset:         8
        .size:           8
        .value_kind:     global_buffer
    .group_segment_fixed_size: 2048
    .kernarg_segment_align: 8
    .kernarg_segment_size: 16
    .language:       OpenCL C
    .language_version:
      - 2
      - 0
    .max_flat_workgroup_size: 256
    .name:           _Z6kernelI6rotatedLj256ELj1ELj100EEvPKT0_PS1_
    .private_segment_fixed_size: 0
    .sgpr_count:     9
    .sgpr_spill_count: 0
    .symbol:         _Z6kernelI6rotatedLj256ELj1ELj100EEvPKT0_PS1_.kd
    .uniform_work_group_size: 1
    .uses_dynamic_stack: false
    .vgpr_count:     7
    .vgpr_spill_count: 0
    .wavefront_size: 32
  - .args:
      - .address_space:  global
        .offset:         0
        .size:           8
        .value_kind:     global_buffer
      - .address_space:  global
        .offset:         8
        .size:           8
        .value_kind:     global_buffer
    .group_segment_fixed_size: 256
    .kernarg_segment_align: 8
    .kernarg_segment_size: 16
    .language:       OpenCL C
    .language_version:
      - 2
      - 0
    .max_flat_workgroup_size: 256
    .name:           _Z6kernelI6rotateaLj256ELj1ELj100EEvPKT0_PS1_
    .private_segment_fixed_size: 0
    .sgpr_count:     9
    .sgpr_spill_count: 0
    .symbol:         _Z6kernelI6rotateaLj256ELj1ELj100EEvPKT0_PS1_.kd
    .uniform_work_group_size: 1
    .uses_dynamic_stack: false
    .vgpr_count:     5
    .vgpr_spill_count: 0
    .wavefront_size: 32
  - .args:
      - .address_space:  global
        .offset:         0
        .size:           8
        .value_kind:     global_buffer
      - .address_space:  global
        .offset:         8
        .size:           8
        .value_kind:     global_buffer
    .group_segment_fixed_size: 2048
    .kernarg_segment_align: 8
    .kernarg_segment_size: 16
    .language:       OpenCL C
    .language_version:
      - 2
      - 0
    .max_flat_workgroup_size: 256
    .name:           _Z6kernelI6rotatexLj256ELj1ELj100EEvPKT0_PS1_
    .private_segment_fixed_size: 0
    .sgpr_count:     9
    .sgpr_spill_count: 0
    .symbol:         _Z6kernelI6rotatexLj256ELj1ELj100EEvPKT0_PS1_.kd
    .uniform_work_group_size: 1
    .uses_dynamic_stack: false
    .vgpr_count:     7
    .vgpr_spill_count: 0
    .wavefront_size: 32
  - .args:
      - .address_space:  global
        .offset:         0
        .size:           8
        .value_kind:     global_buffer
      - .address_space:  global
        .offset:         8
        .size:           8
        .value_kind:     global_buffer
    .group_segment_fixed_size: 2048
    .kernarg_segment_align: 8
    .kernarg_segment_size: 16
    .language:       OpenCL C
    .language_version:
      - 2
      - 0
    .max_flat_workgroup_size: 256
    .name:           _Z6kernelI6rotateN15benchmark_utils11custom_typeIffEELj256ELj1ELj100EEvPKT0_PS4_
    .private_segment_fixed_size: 0
    .sgpr_count:     9
    .sgpr_spill_count: 0
    .symbol:         _Z6kernelI6rotateN15benchmark_utils11custom_typeIffEELj256ELj1ELj100EEvPKT0_PS4_.kd
    .uniform_work_group_size: 1
    .uses_dynamic_stack: false
    .vgpr_count:     7
    .vgpr_spill_count: 0
    .wavefront_size: 32
  - .args:
      - .address_space:  global
        .offset:         0
        .size:           8
        .value_kind:     global_buffer
      - .address_space:  global
        .offset:         8
        .size:           8
        .value_kind:     global_buffer
    .group_segment_fixed_size: 4096
    .kernarg_segment_align: 8
    .kernarg_segment_size: 16
    .language:       OpenCL C
    .language_version:
      - 2
      - 0
    .max_flat_workgroup_size: 256
    .name:           _Z6kernelI6rotateN15benchmark_utils11custom_typeIddEELj256ELj1ELj100EEvPKT0_PS4_
    .private_segment_fixed_size: 0
    .sgpr_count:     9
    .sgpr_spill_count: 0
    .symbol:         _Z6kernelI6rotateN15benchmark_utils11custom_typeIddEELj256ELj1ELj100EEvPKT0_PS4_.kd
    .uniform_work_group_size: 1
    .uses_dynamic_stack: false
    .vgpr_count:     9
    .vgpr_spill_count: 0
    .wavefront_size: 32
  - .args:
      - .address_space:  global
        .offset:         0
        .size:           8
        .value_kind:     global_buffer
      - .address_space:  global
        .offset:         8
        .size:           8
        .value_kind:     global_buffer
    .group_segment_fixed_size: 1024
    .kernarg_segment_align: 8
    .kernarg_segment_size: 16
    .language:       OpenCL C
    .language_version:
      - 2
      - 0
    .max_flat_workgroup_size: 256
    .name:           _Z6kernelI2upiLj256ELj1ELj100EEvPKT0_PS1_
    .private_segment_fixed_size: 0
    .sgpr_count:     9
    .sgpr_spill_count: 0
    .symbol:         _Z6kernelI2upiLj256ELj1ELj100EEvPKT0_PS1_.kd
    .uniform_work_group_size: 1
    .uses_dynamic_stack: false
    .vgpr_count:     5
    .vgpr_spill_count: 0
    .wavefront_size: 32
  - .args:
      - .address_space:  global
        .offset:         0
        .size:           8
        .value_kind:     global_buffer
      - .address_space:  global
        .offset:         8
        .size:           8
        .value_kind:     global_buffer
    .group_segment_fixed_size: 1024
    .kernarg_segment_align: 8
    .kernarg_segment_size: 16
    .language:       OpenCL C
    .language_version:
      - 2
      - 0
    .max_flat_workgroup_size: 256
    .name:           _Z6kernelI2upiLj256ELj3ELj100EEvPKT0_PS1_
    .private_segment_fixed_size: 0
    .sgpr_count:     9
    .sgpr_spill_count: 0
    .symbol:         _Z6kernelI2upiLj256ELj3ELj100EEvPKT0_PS1_.kd
    .uniform_work_group_size: 1
    .uses_dynamic_stack: false
    .vgpr_count:     12
    .vgpr_spill_count: 0
    .wavefront_size: 32
  - .args:
      - .address_space:  global
        .offset:         0
        .size:           8
        .value_kind:     global_buffer
      - .address_space:  global
        .offset:         8
        .size:           8
        .value_kind:     global_buffer
    .group_segment_fixed_size: 1024
    .kernarg_segment_align: 8
    .kernarg_segment_size: 16
    .language:       OpenCL C
    .language_version:
      - 2
      - 0
    .max_flat_workgroup_size: 256
    .name:           _Z6kernelI2upiLj256ELj4ELj100EEvPKT0_PS1_
    .private_segment_fixed_size: 0
    .sgpr_count:     9
    .sgpr_spill_count: 0
    .symbol:         _Z6kernelI2upiLj256ELj4ELj100EEvPKT0_PS1_.kd
    .uniform_work_group_size: 1
    .uses_dynamic_stack: false
    .vgpr_count:     13
    .vgpr_spill_count: 0
    .wavefront_size: 32
  - .args:
      - .address_space:  global
        .offset:         0
        .size:           8
        .value_kind:     global_buffer
      - .address_space:  global
        .offset:         8
        .size:           8
        .value_kind:     global_buffer
    .group_segment_fixed_size: 1024
    .kernarg_segment_align: 8
    .kernarg_segment_size: 16
    .language:       OpenCL C
    .language_version:
      - 2
      - 0
    .max_flat_workgroup_size: 256
    .name:           _Z6kernelI2upiLj256ELj8ELj100EEvPKT0_PS1_
    .private_segment_fixed_size: 0
    .sgpr_count:     9
    .sgpr_spill_count: 0
    .symbol:         _Z6kernelI2upiLj256ELj8ELj100EEvPKT0_PS1_.kd
    .uniform_work_group_size: 1
    .uses_dynamic_stack: false
    .vgpr_count:     21
    .vgpr_spill_count: 0
    .wavefront_size: 32
  - .args:
      - .address_space:  global
        .offset:         0
        .size:           8
        .value_kind:     global_buffer
      - .address_space:  global
        .offset:         8
        .size:           8
        .value_kind:     global_buffer
    .group_segment_fixed_size: 1024
    .kernarg_segment_align: 8
    .kernarg_segment_size: 16
    .language:       OpenCL C
    .language_version:
      - 2
      - 0
    .max_flat_workgroup_size: 256
    .name:           _Z6kernelI2upiLj256ELj16ELj100EEvPKT0_PS1_
    .private_segment_fixed_size: 0
    .sgpr_count:     9
    .sgpr_spill_count: 0
    .symbol:         _Z6kernelI2upiLj256ELj16ELj100EEvPKT0_PS1_.kd
    .uniform_work_group_size: 1
    .uses_dynamic_stack: false
    .vgpr_count:     33
    .vgpr_spill_count: 0
    .wavefront_size: 32
  - .args:
      - .address_space:  global
        .offset:         0
        .size:           8
        .value_kind:     global_buffer
      - .address_space:  global
        .offset:         8
        .size:           8
        .value_kind:     global_buffer
    .group_segment_fixed_size: 1024
    .kernarg_segment_align: 8
    .kernarg_segment_size: 16
    .language:       OpenCL C
    .language_version:
      - 2
      - 0
    .max_flat_workgroup_size: 256
    .name:           _Z6kernelI2upiLj256ELj32ELj100EEvPKT0_PS1_
    .private_segment_fixed_size: 0
    .sgpr_count:     9
    .sgpr_spill_count: 0
    .symbol:         _Z6kernelI2upiLj256ELj32ELj100EEvPKT0_PS1_.kd
    .uniform_work_group_size: 1
    .uses_dynamic_stack: false
    .vgpr_count:     65
    .vgpr_spill_count: 0
    .wavefront_size: 32
  - .args:
      - .address_space:  global
        .offset:         0
        .size:           8
        .value_kind:     global_buffer
      - .address_space:  global
        .offset:         8
        .size:           8
        .value_kind:     global_buffer
    .group_segment_fixed_size: 1024
    .kernarg_segment_align: 8
    .kernarg_segment_size: 16
    .language:       OpenCL C
    .language_version:
      - 2
      - 0
    .max_flat_workgroup_size: 256
    .name:           _Z6kernelI2upfLj256ELj1ELj100EEvPKT0_PS1_
    .private_segment_fixed_size: 0
    .sgpr_count:     9
    .sgpr_spill_count: 0
    .symbol:         _Z6kernelI2upfLj256ELj1ELj100EEvPKT0_PS1_.kd
    .uniform_work_group_size: 1
    .uses_dynamic_stack: false
    .vgpr_count:     5
    .vgpr_spill_count: 0
    .wavefront_size: 32
  - .args:
      - .address_space:  global
        .offset:         0
        .size:           8
        .value_kind:     global_buffer
      - .address_space:  global
        .offset:         8
        .size:           8
        .value_kind:     global_buffer
    .group_segment_fixed_size: 1024
    .kernarg_segment_align: 8
    .kernarg_segment_size: 16
    .language:       OpenCL C
    .language_version:
      - 2
      - 0
    .max_flat_workgroup_size: 256
    .name:           _Z6kernelI2upfLj256ELj3ELj100EEvPKT0_PS1_
    .private_segment_fixed_size: 0
    .sgpr_count:     9
    .sgpr_spill_count: 0
    .symbol:         _Z6kernelI2upfLj256ELj3ELj100EEvPKT0_PS1_.kd
    .uniform_work_group_size: 1
    .uses_dynamic_stack: false
    .vgpr_count:     12
    .vgpr_spill_count: 0
    .wavefront_size: 32
  - .args:
      - .address_space:  global
        .offset:         0
        .size:           8
        .value_kind:     global_buffer
      - .address_space:  global
        .offset:         8
        .size:           8
        .value_kind:     global_buffer
    .group_segment_fixed_size: 1024
    .kernarg_segment_align: 8
    .kernarg_segment_size: 16
    .language:       OpenCL C
    .language_version:
      - 2
      - 0
    .max_flat_workgroup_size: 256
    .name:           _Z6kernelI2upfLj256ELj4ELj100EEvPKT0_PS1_
    .private_segment_fixed_size: 0
    .sgpr_count:     9
    .sgpr_spill_count: 0
    .symbol:         _Z6kernelI2upfLj256ELj4ELj100EEvPKT0_PS1_.kd
    .uniform_work_group_size: 1
    .uses_dynamic_stack: false
    .vgpr_count:     13
    .vgpr_spill_count: 0
    .wavefront_size: 32
  - .args:
      - .address_space:  global
        .offset:         0
        .size:           8
        .value_kind:     global_buffer
      - .address_space:  global
        .offset:         8
        .size:           8
        .value_kind:     global_buffer
    .group_segment_fixed_size: 1024
    .kernarg_segment_align: 8
    .kernarg_segment_size: 16
    .language:       OpenCL C
    .language_version:
      - 2
      - 0
    .max_flat_workgroup_size: 256
    .name:           _Z6kernelI2upfLj256ELj8ELj100EEvPKT0_PS1_
    .private_segment_fixed_size: 0
    .sgpr_count:     9
    .sgpr_spill_count: 0
    .symbol:         _Z6kernelI2upfLj256ELj8ELj100EEvPKT0_PS1_.kd
    .uniform_work_group_size: 1
    .uses_dynamic_stack: false
    .vgpr_count:     21
    .vgpr_spill_count: 0
    .wavefront_size: 32
  - .args:
      - .address_space:  global
        .offset:         0
        .size:           8
        .value_kind:     global_buffer
      - .address_space:  global
        .offset:         8
        .size:           8
        .value_kind:     global_buffer
    .group_segment_fixed_size: 1024
    .kernarg_segment_align: 8
    .kernarg_segment_size: 16
    .language:       OpenCL C
    .language_version:
      - 2
      - 0
    .max_flat_workgroup_size: 256
    .name:           _Z6kernelI2upfLj256ELj16ELj100EEvPKT0_PS1_
    .private_segment_fixed_size: 0
    .sgpr_count:     9
    .sgpr_spill_count: 0
    .symbol:         _Z6kernelI2upfLj256ELj16ELj100EEvPKT0_PS1_.kd
    .uniform_work_group_size: 1
    .uses_dynamic_stack: false
    .vgpr_count:     35
    .vgpr_spill_count: 0
    .wavefront_size: 32
  - .args:
      - .address_space:  global
        .offset:         0
        .size:           8
        .value_kind:     global_buffer
      - .address_space:  global
        .offset:         8
        .size:           8
        .value_kind:     global_buffer
    .group_segment_fixed_size: 1024
    .kernarg_segment_align: 8
    .kernarg_segment_size: 16
    .language:       OpenCL C
    .language_version:
      - 2
      - 0
    .max_flat_workgroup_size: 256
    .name:           _Z6kernelI2upfLj256ELj32ELj100EEvPKT0_PS1_
    .private_segment_fixed_size: 0
    .sgpr_count:     9
    .sgpr_spill_count: 0
    .symbol:         _Z6kernelI2upfLj256ELj32ELj100EEvPKT0_PS1_.kd
    .uniform_work_group_size: 1
    .uses_dynamic_stack: false
    .vgpr_count:     66
    .vgpr_spill_count: 0
    .wavefront_size: 32
  - .args:
      - .address_space:  global
        .offset:         0
        .size:           8
        .value_kind:     global_buffer
      - .address_space:  global
        .offset:         8
        .size:           8
        .value_kind:     global_buffer
    .group_segment_fixed_size: 2048
    .kernarg_segment_align: 8
    .kernarg_segment_size: 16
    .language:       OpenCL C
    .language_version:
      - 2
      - 0
    .max_flat_workgroup_size: 256
    .name:           _Z6kernelI2updLj256ELj1ELj100EEvPKT0_PS1_
    .private_segment_fixed_size: 0
    .sgpr_count:     9
    .sgpr_spill_count: 0
    .symbol:         _Z6kernelI2updLj256ELj1ELj100EEvPKT0_PS1_.kd
    .uniform_work_group_size: 1
    .uses_dynamic_stack: false
    .vgpr_count:     6
    .vgpr_spill_count: 0
    .wavefront_size: 32
  - .args:
      - .address_space:  global
        .offset:         0
        .size:           8
        .value_kind:     global_buffer
      - .address_space:  global
        .offset:         8
        .size:           8
        .value_kind:     global_buffer
    .group_segment_fixed_size: 2048
    .kernarg_segment_align: 8
    .kernarg_segment_size: 16
    .language:       OpenCL C
    .language_version:
      - 2
      - 0
    .max_flat_workgroup_size: 256
    .name:           _Z6kernelI2updLj256ELj3ELj100EEvPKT0_PS1_
    .private_segment_fixed_size: 0
    .sgpr_count:     9
    .sgpr_spill_count: 0
    .symbol:         _Z6kernelI2updLj256ELj3ELj100EEvPKT0_PS1_.kd
    .uniform_work_group_size: 1
    .uses_dynamic_stack: false
    .vgpr_count:     16
    .vgpr_spill_count: 0
    .wavefront_size: 32
  - .args:
      - .address_space:  global
        .offset:         0
        .size:           8
        .value_kind:     global_buffer
      - .address_space:  global
        .offset:         8
        .size:           8
        .value_kind:     global_buffer
    .group_segment_fixed_size: 2048
    .kernarg_segment_align: 8
    .kernarg_segment_size: 16
    .language:       OpenCL C
    .language_version:
      - 2
      - 0
    .max_flat_workgroup_size: 256
    .name:           _Z6kernelI2updLj256ELj4ELj100EEvPKT0_PS1_
    .private_segment_fixed_size: 0
    .sgpr_count:     9
    .sgpr_spill_count: 0
    .symbol:         _Z6kernelI2updLj256ELj4ELj100EEvPKT0_PS1_.kd
    .uniform_work_group_size: 1
    .uses_dynamic_stack: false
    .vgpr_count:     14
    .vgpr_spill_count: 0
    .wavefront_size: 32
  - .args:
      - .address_space:  global
        .offset:         0
        .size:           8
        .value_kind:     global_buffer
      - .address_space:  global
        .offset:         8
        .size:           8
        .value_kind:     global_buffer
    .group_segment_fixed_size: 2048
    .kernarg_segment_align: 8
    .kernarg_segment_size: 16
    .language:       OpenCL C
    .language_version:
      - 2
      - 0
    .max_flat_workgroup_size: 256
    .name:           _Z6kernelI2updLj256ELj8ELj100EEvPKT0_PS1_
    .private_segment_fixed_size: 0
    .sgpr_count:     9
    .sgpr_spill_count: 0
    .symbol:         _Z6kernelI2updLj256ELj8ELj100EEvPKT0_PS1_.kd
    .uniform_work_group_size: 1
    .uses_dynamic_stack: false
    .vgpr_count:     24
    .vgpr_spill_count: 0
    .wavefront_size: 32
  - .args:
      - .address_space:  global
        .offset:         0
        .size:           8
        .value_kind:     global_buffer
      - .address_space:  global
        .offset:         8
        .size:           8
        .value_kind:     global_buffer
    .group_segment_fixed_size: 2048
    .kernarg_segment_align: 8
    .kernarg_segment_size: 16
    .language:       OpenCL C
    .language_version:
      - 2
      - 0
    .max_flat_workgroup_size: 256
    .name:           _Z6kernelI2updLj256ELj16ELj100EEvPKT0_PS1_
    .private_segment_fixed_size: 0
    .sgpr_count:     9
    .sgpr_spill_count: 0
    .symbol:         _Z6kernelI2updLj256ELj16ELj100EEvPKT0_PS1_.kd
    .uniform_work_group_size: 1
    .uses_dynamic_stack: false
    .vgpr_count:     40
    .vgpr_spill_count: 0
    .wavefront_size: 32
  - .args:
      - .address_space:  global
        .offset:         0
        .size:           8
        .value_kind:     global_buffer
      - .address_space:  global
        .offset:         8
        .size:           8
        .value_kind:     global_buffer
    .group_segment_fixed_size: 2048
    .kernarg_segment_align: 8
    .kernarg_segment_size: 16
    .language:       OpenCL C
    .language_version:
      - 2
      - 0
    .max_flat_workgroup_size: 256
    .name:           _Z6kernelI2updLj256ELj32ELj100EEvPKT0_PS1_
    .private_segment_fixed_size: 0
    .sgpr_count:     9
    .sgpr_spill_count: 0
    .symbol:         _Z6kernelI2updLj256ELj32ELj100EEvPKT0_PS1_.kd
    .uniform_work_group_size: 1
    .uses_dynamic_stack: false
    .vgpr_count:     72
    .vgpr_spill_count: 0
    .wavefront_size: 32
  - .args:
      - .address_space:  global
        .offset:         0
        .size:           8
        .value_kind:     global_buffer
      - .address_space:  global
        .offset:         8
        .size:           8
        .value_kind:     global_buffer
    .group_segment_fixed_size: 256
    .kernarg_segment_align: 8
    .kernarg_segment_size: 16
    .language:       OpenCL C
    .language_version:
      - 2
      - 0
    .max_flat_workgroup_size: 256
    .name:           _Z6kernelI2upaLj256ELj1ELj100EEvPKT0_PS1_
    .private_segment_fixed_size: 0
    .sgpr_count:     9
    .sgpr_spill_count: 0
    .symbol:         _Z6kernelI2upaLj256ELj1ELj100EEvPKT0_PS1_.kd
    .uniform_work_group_size: 1
    .uses_dynamic_stack: false
    .vgpr_count:     5
    .vgpr_spill_count: 0
    .wavefront_size: 32
  - .args:
      - .address_space:  global
        .offset:         0
        .size:           8
        .value_kind:     global_buffer
      - .address_space:  global
        .offset:         8
        .size:           8
        .value_kind:     global_buffer
    .group_segment_fixed_size: 256
    .kernarg_segment_align: 8
    .kernarg_segment_size: 16
    .language:       OpenCL C
    .language_version:
      - 2
      - 0
    .max_flat_workgroup_size: 256
    .name:           _Z6kernelI2upaLj256ELj3ELj100EEvPKT0_PS1_
    .private_segment_fixed_size: 0
    .sgpr_count:     9
    .sgpr_spill_count: 0
    .symbol:         _Z6kernelI2upaLj256ELj3ELj100EEvPKT0_PS1_.kd
    .uniform_work_group_size: 1
    .uses_dynamic_stack: false
    .vgpr_count:     11
    .vgpr_spill_count: 0
    .wavefront_size: 32
  - .args:
      - .address_space:  global
        .offset:         0
        .size:           8
        .value_kind:     global_buffer
      - .address_space:  global
        .offset:         8
        .size:           8
        .value_kind:     global_buffer
    .group_segment_fixed_size: 256
    .kernarg_segment_align: 8
    .kernarg_segment_size: 16
    .language:       OpenCL C
    .language_version:
      - 2
      - 0
    .max_flat_workgroup_size: 256
    .name:           _Z6kernelI2upaLj256ELj4ELj100EEvPKT0_PS1_
    .private_segment_fixed_size: 0
    .sgpr_count:     9
    .sgpr_spill_count: 0
    .symbol:         _Z6kernelI2upaLj256ELj4ELj100EEvPKT0_PS1_.kd
    .uniform_work_group_size: 1
    .uses_dynamic_stack: false
    .vgpr_count:     6
    .vgpr_spill_count: 0
    .wavefront_size: 32
  - .args:
      - .address_space:  global
        .offset:         0
        .size:           8
        .value_kind:     global_buffer
      - .address_space:  global
        .offset:         8
        .size:           8
        .value_kind:     global_buffer
    .group_segment_fixed_size: 256
    .kernarg_segment_align: 8
    .kernarg_segment_size: 16
    .language:       OpenCL C
    .language_version:
      - 2
      - 0
    .max_flat_workgroup_size: 256
    .name:           _Z6kernelI2upaLj256ELj8ELj100EEvPKT0_PS1_
    .private_segment_fixed_size: 0
    .sgpr_count:     9
    .sgpr_spill_count: 0
    .symbol:         _Z6kernelI2upaLj256ELj8ELj100EEvPKT0_PS1_.kd
    .uniform_work_group_size: 1
    .uses_dynamic_stack: false
    .vgpr_count:     7
    .vgpr_spill_count: 0
    .wavefront_size: 32
  - .args:
      - .address_space:  global
        .offset:         0
        .size:           8
        .value_kind:     global_buffer
      - .address_space:  global
        .offset:         8
        .size:           8
        .value_kind:     global_buffer
    .group_segment_fixed_size: 256
    .kernarg_segment_align: 8
    .kernarg_segment_size: 16
    .language:       OpenCL C
    .language_version:
      - 2
      - 0
    .max_flat_workgroup_size: 256
    .name:           _Z6kernelI2upaLj256ELj16ELj100EEvPKT0_PS1_
    .private_segment_fixed_size: 0
    .sgpr_count:     9
    .sgpr_spill_count: 0
    .symbol:         _Z6kernelI2upaLj256ELj16ELj100EEvPKT0_PS1_.kd
    .uniform_work_group_size: 1
    .uses_dynamic_stack: false
    .vgpr_count:     9
    .vgpr_spill_count: 0
    .wavefront_size: 32
  - .args:
      - .address_space:  global
        .offset:         0
        .size:           8
        .value_kind:     global_buffer
      - .address_space:  global
        .offset:         8
        .size:           8
        .value_kind:     global_buffer
    .group_segment_fixed_size: 256
    .kernarg_segment_align: 8
    .kernarg_segment_size: 16
    .language:       OpenCL C
    .language_version:
      - 2
      - 0
    .max_flat_workgroup_size: 256
    .name:           _Z6kernelI2upaLj256ELj32ELj100EEvPKT0_PS1_
    .private_segment_fixed_size: 0
    .sgpr_count:     9
    .sgpr_spill_count: 0
    .symbol:         _Z6kernelI2upaLj256ELj32ELj100EEvPKT0_PS1_.kd
    .uniform_work_group_size: 1
    .uses_dynamic_stack: false
    .vgpr_count:     13
    .vgpr_spill_count: 0
    .wavefront_size: 32
  - .args:
      - .address_space:  global
        .offset:         0
        .size:           8
        .value_kind:     global_buffer
      - .address_space:  global
        .offset:         8
        .size:           8
        .value_kind:     global_buffer
    .group_segment_fixed_size: 2048
    .kernarg_segment_align: 8
    .kernarg_segment_size: 16
    .language:       OpenCL C
    .language_version:
      - 2
      - 0
    .max_flat_workgroup_size: 256
    .name:           _Z6kernelI2upxLj256ELj1ELj100EEvPKT0_PS1_
    .private_segment_fixed_size: 0
    .sgpr_count:     9
    .sgpr_spill_count: 0
    .symbol:         _Z6kernelI2upxLj256ELj1ELj100EEvPKT0_PS1_.kd
    .uniform_work_group_size: 1
    .uses_dynamic_stack: false
    .vgpr_count:     6
    .vgpr_spill_count: 0
    .wavefront_size: 32
  - .args:
      - .address_space:  global
        .offset:         0
        .size:           8
        .value_kind:     global_buffer
      - .address_space:  global
        .offset:         8
        .size:           8
        .value_kind:     global_buffer
    .group_segment_fixed_size: 2048
    .kernarg_segment_align: 8
    .kernarg_segment_size: 16
    .language:       OpenCL C
    .language_version:
      - 2
      - 0
    .max_flat_workgroup_size: 256
    .name:           _Z6kernelI2upxLj256ELj3ELj100EEvPKT0_PS1_
    .private_segment_fixed_size: 0
    .sgpr_count:     9
    .sgpr_spill_count: 0
    .symbol:         _Z6kernelI2upxLj256ELj3ELj100EEvPKT0_PS1_.kd
    .uniform_work_group_size: 1
    .uses_dynamic_stack: false
    .vgpr_count:     16
    .vgpr_spill_count: 0
    .wavefront_size: 32
  - .args:
      - .address_space:  global
        .offset:         0
        .size:           8
        .value_kind:     global_buffer
      - .address_space:  global
        .offset:         8
        .size:           8
        .value_kind:     global_buffer
    .group_segment_fixed_size: 2048
    .kernarg_segment_align: 8
    .kernarg_segment_size: 16
    .language:       OpenCL C
    .language_version:
      - 2
      - 0
    .max_flat_workgroup_size: 256
    .name:           _Z6kernelI2upxLj256ELj4ELj100EEvPKT0_PS1_
    .private_segment_fixed_size: 0
    .sgpr_count:     9
    .sgpr_spill_count: 0
    .symbol:         _Z6kernelI2upxLj256ELj4ELj100EEvPKT0_PS1_.kd
    .uniform_work_group_size: 1
    .uses_dynamic_stack: false
    .vgpr_count:     14
    .vgpr_spill_count: 0
    .wavefront_size: 32
  - .args:
      - .address_space:  global
        .offset:         0
        .size:           8
        .value_kind:     global_buffer
      - .address_space:  global
        .offset:         8
        .size:           8
        .value_kind:     global_buffer
    .group_segment_fixed_size: 2048
    .kernarg_segment_align: 8
    .kernarg_segment_size: 16
    .language:       OpenCL C
    .language_version:
      - 2
      - 0
    .max_flat_workgroup_size: 256
    .name:           _Z6kernelI2upxLj256ELj8ELj100EEvPKT0_PS1_
    .private_segment_fixed_size: 0
    .sgpr_count:     9
    .sgpr_spill_count: 0
    .symbol:         _Z6kernelI2upxLj256ELj8ELj100EEvPKT0_PS1_.kd
    .uniform_work_group_size: 1
    .uses_dynamic_stack: false
    .vgpr_count:     24
    .vgpr_spill_count: 0
    .wavefront_size: 32
  - .args:
      - .address_space:  global
        .offset:         0
        .size:           8
        .value_kind:     global_buffer
      - .address_space:  global
        .offset:         8
        .size:           8
        .value_kind:     global_buffer
    .group_segment_fixed_size: 2048
    .kernarg_segment_align: 8
    .kernarg_segment_size: 16
    .language:       OpenCL C
    .language_version:
      - 2
      - 0
    .max_flat_workgroup_size: 256
    .name:           _Z6kernelI2upxLj256ELj16ELj100EEvPKT0_PS1_
    .private_segment_fixed_size: 0
    .sgpr_count:     9
    .sgpr_spill_count: 0
    .symbol:         _Z6kernelI2upxLj256ELj16ELj100EEvPKT0_PS1_.kd
    .uniform_work_group_size: 1
    .uses_dynamic_stack: false
    .vgpr_count:     40
    .vgpr_spill_count: 0
    .wavefront_size: 32
  - .args:
      - .address_space:  global
        .offset:         0
        .size:           8
        .value_kind:     global_buffer
      - .address_space:  global
        .offset:         8
        .size:           8
        .value_kind:     global_buffer
    .group_segment_fixed_size: 2048
    .kernarg_segment_align: 8
    .kernarg_segment_size: 16
    .language:       OpenCL C
    .language_version:
      - 2
      - 0
    .max_flat_workgroup_size: 256
    .name:           _Z6kernelI2upxLj256ELj32ELj100EEvPKT0_PS1_
    .private_segment_fixed_size: 0
    .sgpr_count:     9
    .sgpr_spill_count: 0
    .symbol:         _Z6kernelI2upxLj256ELj32ELj100EEvPKT0_PS1_.kd
    .uniform_work_group_size: 1
    .uses_dynamic_stack: false
    .vgpr_count:     72
    .vgpr_spill_count: 0
    .wavefront_size: 32
  - .args:
      - .address_space:  global
        .offset:         0
        .size:           8
        .value_kind:     global_buffer
      - .address_space:  global
        .offset:         8
        .size:           8
        .value_kind:     global_buffer
    .group_segment_fixed_size: 2048
    .kernarg_segment_align: 8
    .kernarg_segment_size: 16
    .language:       OpenCL C
    .language_version:
      - 2
      - 0
    .max_flat_workgroup_size: 256
    .name:           _Z6kernelI2upN15benchmark_utils11custom_typeIffEELj256ELj1ELj100EEvPKT0_PS4_
    .private_segment_fixed_size: 0
    .sgpr_count:     9
    .sgpr_spill_count: 0
    .symbol:         _Z6kernelI2upN15benchmark_utils11custom_typeIffEELj256ELj1ELj100EEvPKT0_PS4_.kd
    .uniform_work_group_size: 1
    .uses_dynamic_stack: false
    .vgpr_count:     6
    .vgpr_spill_count: 0
    .wavefront_size: 32
  - .args:
      - .address_space:  global
        .offset:         0
        .size:           8
        .value_kind:     global_buffer
      - .address_space:  global
        .offset:         8
        .size:           8
        .value_kind:     global_buffer
    .group_segment_fixed_size: 2048
    .kernarg_segment_align: 8
    .kernarg_segment_size: 16
    .language:       OpenCL C
    .language_version:
      - 2
      - 0
    .max_flat_workgroup_size: 256
    .name:           _Z6kernelI2upN15benchmark_utils11custom_typeIffEELj256ELj3ELj100EEvPKT0_PS4_
    .private_segment_fixed_size: 0
    .sgpr_count:     9
    .sgpr_spill_count: 0
    .symbol:         _Z6kernelI2upN15benchmark_utils11custom_typeIffEELj256ELj3ELj100EEvPKT0_PS4_.kd
    .uniform_work_group_size: 1
    .uses_dynamic_stack: false
    .vgpr_count:     18
    .vgpr_spill_count: 0
    .wavefront_size: 32
  - .args:
      - .address_space:  global
        .offset:         0
        .size:           8
        .value_kind:     global_buffer
      - .address_space:  global
        .offset:         8
        .size:           8
        .value_kind:     global_buffer
    .group_segment_fixed_size: 2048
    .kernarg_segment_align: 8
    .kernarg_segment_size: 16
    .language:       OpenCL C
    .language_version:
      - 2
      - 0
    .max_flat_workgroup_size: 256
    .name:           _Z6kernelI2upN15benchmark_utils11custom_typeIffEELj256ELj4ELj100EEvPKT0_PS4_
    .private_segment_fixed_size: 0
    .sgpr_count:     9
    .sgpr_spill_count: 0
    .symbol:         _Z6kernelI2upN15benchmark_utils11custom_typeIffEELj256ELj4ELj100EEvPKT0_PS4_.kd
    .uniform_work_group_size: 1
    .uses_dynamic_stack: false
    .vgpr_count:     14
    .vgpr_spill_count: 0
    .wavefront_size: 32
  - .args:
      - .address_space:  global
        .offset:         0
        .size:           8
        .value_kind:     global_buffer
      - .address_space:  global
        .offset:         8
        .size:           8
        .value_kind:     global_buffer
    .group_segment_fixed_size: 2048
    .kernarg_segment_align: 8
    .kernarg_segment_size: 16
    .language:       OpenCL C
    .language_version:
      - 2
      - 0
    .max_flat_workgroup_size: 256
    .name:           _Z6kernelI2upN15benchmark_utils11custom_typeIffEELj256ELj8ELj100EEvPKT0_PS4_
    .private_segment_fixed_size: 0
    .sgpr_count:     9
    .sgpr_spill_count: 0
    .symbol:         _Z6kernelI2upN15benchmark_utils11custom_typeIffEELj256ELj8ELj100EEvPKT0_PS4_.kd
    .uniform_work_group_size: 1
    .uses_dynamic_stack: false
    .vgpr_count:     24
    .vgpr_spill_count: 0
    .wavefront_size: 32
  - .args:
      - .address_space:  global
        .offset:         0
        .size:           8
        .value_kind:     global_buffer
      - .address_space:  global
        .offset:         8
        .size:           8
        .value_kind:     global_buffer
    .group_segment_fixed_size: 2048
    .kernarg_segment_align: 8
    .kernarg_segment_size: 16
    .language:       OpenCL C
    .language_version:
      - 2
      - 0
    .max_flat_workgroup_size: 256
    .name:           _Z6kernelI2upN15benchmark_utils11custom_typeIffEELj256ELj16ELj100EEvPKT0_PS4_
    .private_segment_fixed_size: 0
    .sgpr_count:     9
    .sgpr_spill_count: 0
    .symbol:         _Z6kernelI2upN15benchmark_utils11custom_typeIffEELj256ELj16ELj100EEvPKT0_PS4_.kd
    .uniform_work_group_size: 1
    .uses_dynamic_stack: false
    .vgpr_count:     38
    .vgpr_spill_count: 0
    .wavefront_size: 32
  - .args:
      - .address_space:  global
        .offset:         0
        .size:           8
        .value_kind:     global_buffer
      - .address_space:  global
        .offset:         8
        .size:           8
        .value_kind:     global_buffer
    .group_segment_fixed_size: 2048
    .kernarg_segment_align: 8
    .kernarg_segment_size: 16
    .language:       OpenCL C
    .language_version:
      - 2
      - 0
    .max_flat_workgroup_size: 256
    .name:           _Z6kernelI2upN15benchmark_utils11custom_typeIffEELj256ELj32ELj100EEvPKT0_PS4_
    .private_segment_fixed_size: 0
    .sgpr_count:     9
    .sgpr_spill_count: 0
    .symbol:         _Z6kernelI2upN15benchmark_utils11custom_typeIffEELj256ELj32ELj100EEvPKT0_PS4_.kd
    .uniform_work_group_size: 1
    .uses_dynamic_stack: false
    .vgpr_count:     70
    .vgpr_spill_count: 0
    .wavefront_size: 32
  - .args:
      - .address_space:  global
        .offset:         0
        .size:           8
        .value_kind:     global_buffer
      - .address_space:  global
        .offset:         8
        .size:           8
        .value_kind:     global_buffer
    .group_segment_fixed_size: 4096
    .kernarg_segment_align: 8
    .kernarg_segment_size: 16
    .language:       OpenCL C
    .language_version:
      - 2
      - 0
    .max_flat_workgroup_size: 256
    .name:           _Z6kernelI2upN15benchmark_utils11custom_typeIddEELj256ELj1ELj100EEvPKT0_PS4_
    .private_segment_fixed_size: 0
    .sgpr_count:     9
    .sgpr_spill_count: 0
    .symbol:         _Z6kernelI2upN15benchmark_utils11custom_typeIddEELj256ELj1ELj100EEvPKT0_PS4_.kd
    .uniform_work_group_size: 1
    .uses_dynamic_stack: false
    .vgpr_count:     8
    .vgpr_spill_count: 0
    .wavefront_size: 32
  - .args:
      - .address_space:  global
        .offset:         0
        .size:           8
        .value_kind:     global_buffer
      - .address_space:  global
        .offset:         8
        .size:           8
        .value_kind:     global_buffer
    .group_segment_fixed_size: 4096
    .kernarg_segment_align: 8
    .kernarg_segment_size: 16
    .language:       OpenCL C
    .language_version:
      - 2
      - 0
    .max_flat_workgroup_size: 256
    .name:           _Z6kernelI2upN15benchmark_utils11custom_typeIddEELj256ELj3ELj100EEvPKT0_PS4_
    .private_segment_fixed_size: 0
    .sgpr_count:     9
    .sgpr_spill_count: 0
    .symbol:         _Z6kernelI2upN15benchmark_utils11custom_typeIddEELj256ELj3ELj100EEvPKT0_PS4_.kd
    .uniform_work_group_size: 1
    .uses_dynamic_stack: false
    .vgpr_count:     24
    .vgpr_spill_count: 0
    .wavefront_size: 32
  - .args:
      - .address_space:  global
        .offset:         0
        .size:           8
        .value_kind:     global_buffer
      - .address_space:  global
        .offset:         8
        .size:           8
        .value_kind:     global_buffer
    .group_segment_fixed_size: 4096
    .kernarg_segment_align: 8
    .kernarg_segment_size: 16
    .language:       OpenCL C
    .language_version:
      - 2
      - 0
    .max_flat_workgroup_size: 256
    .name:           _Z6kernelI2upN15benchmark_utils11custom_typeIddEELj256ELj4ELj100EEvPKT0_PS4_
    .private_segment_fixed_size: 0
    .sgpr_count:     9
    .sgpr_spill_count: 0
    .symbol:         _Z6kernelI2upN15benchmark_utils11custom_typeIddEELj256ELj4ELj100EEvPKT0_PS4_.kd
    .uniform_work_group_size: 1
    .uses_dynamic_stack: false
    .vgpr_count:     24
    .vgpr_spill_count: 0
    .wavefront_size: 32
  - .args:
      - .address_space:  global
        .offset:         0
        .size:           8
        .value_kind:     global_buffer
      - .address_space:  global
        .offset:         8
        .size:           8
        .value_kind:     global_buffer
    .group_segment_fixed_size: 4096
    .kernarg_segment_align: 8
    .kernarg_segment_size: 16
    .language:       OpenCL C
    .language_version:
      - 2
      - 0
    .max_flat_workgroup_size: 256
    .name:           _Z6kernelI2upN15benchmark_utils11custom_typeIddEELj256ELj8ELj100EEvPKT0_PS4_
    .private_segment_fixed_size: 0
    .sgpr_count:     9
    .sgpr_spill_count: 0
    .symbol:         _Z6kernelI2upN15benchmark_utils11custom_typeIddEELj256ELj8ELj100EEvPKT0_PS4_.kd
    .uniform_work_group_size: 1
    .uses_dynamic_stack: false
    .vgpr_count:     40
    .vgpr_spill_count: 0
    .wavefront_size: 32
  - .args:
      - .address_space:  global
        .offset:         0
        .size:           8
        .value_kind:     global_buffer
      - .address_space:  global
        .offset:         8
        .size:           8
        .value_kind:     global_buffer
    .group_segment_fixed_size: 4096
    .kernarg_segment_align: 8
    .kernarg_segment_size: 16
    .language:       OpenCL C
    .language_version:
      - 2
      - 0
    .max_flat_workgroup_size: 256
    .name:           _Z6kernelI2upN15benchmark_utils11custom_typeIddEELj256ELj16ELj100EEvPKT0_PS4_
    .private_segment_fixed_size: 0
    .sgpr_count:     9
    .sgpr_spill_count: 0
    .symbol:         _Z6kernelI2upN15benchmark_utils11custom_typeIddEELj256ELj16ELj100EEvPKT0_PS4_.kd
    .uniform_work_group_size: 1
    .uses_dynamic_stack: false
    .vgpr_count:     72
    .vgpr_spill_count: 0
    .wavefront_size: 32
  - .args:
      - .address_space:  global
        .offset:         0
        .size:           8
        .value_kind:     global_buffer
      - .address_space:  global
        .offset:         8
        .size:           8
        .value_kind:     global_buffer
    .group_segment_fixed_size: 4096
    .kernarg_segment_align: 8
    .kernarg_segment_size: 16
    .language:       OpenCL C
    .language_version:
      - 2
      - 0
    .max_flat_workgroup_size: 256
    .name:           _Z6kernelI2upN15benchmark_utils11custom_typeIddEELj256ELj32ELj100EEvPKT0_PS4_
    .private_segment_fixed_size: 0
    .sgpr_count:     9
    .sgpr_spill_count: 0
    .symbol:         _Z6kernelI2upN15benchmark_utils11custom_typeIddEELj256ELj32ELj100EEvPKT0_PS4_.kd
    .uniform_work_group_size: 1
    .uses_dynamic_stack: false
    .vgpr_count:     136
    .vgpr_spill_count: 0
    .wavefront_size: 32
  - .args:
      - .address_space:  global
        .offset:         0
        .size:           8
        .value_kind:     global_buffer
      - .address_space:  global
        .offset:         8
        .size:           8
        .value_kind:     global_buffer
    .group_segment_fixed_size: 1024
    .kernarg_segment_align: 8
    .kernarg_segment_size: 16
    .language:       OpenCL C
    .language_version:
      - 2
      - 0
    .max_flat_workgroup_size: 256
    .name:           _Z6kernelI4downiLj256ELj1ELj100EEvPKT0_PS1_
    .private_segment_fixed_size: 0
    .sgpr_count:     9
    .sgpr_spill_count: 0
    .symbol:         _Z6kernelI4downiLj256ELj1ELj100EEvPKT0_PS1_.kd
    .uniform_work_group_size: 1
    .uses_dynamic_stack: false
    .vgpr_count:     5
    .vgpr_spill_count: 0
    .wavefront_size: 32
  - .args:
      - .address_space:  global
        .offset:         0
        .size:           8
        .value_kind:     global_buffer
      - .address_space:  global
        .offset:         8
        .size:           8
        .value_kind:     global_buffer
    .group_segment_fixed_size: 1024
    .kernarg_segment_align: 8
    .kernarg_segment_size: 16
    .language:       OpenCL C
    .language_version:
      - 2
      - 0
    .max_flat_workgroup_size: 256
    .name:           _Z6kernelI4downiLj256ELj3ELj100EEvPKT0_PS1_
    .private_segment_fixed_size: 0
    .sgpr_count:     9
    .sgpr_spill_count: 0
    .symbol:         _Z6kernelI4downiLj256ELj3ELj100EEvPKT0_PS1_.kd
    .uniform_work_group_size: 1
    .uses_dynamic_stack: false
    .vgpr_count:     11
    .vgpr_spill_count: 0
    .wavefront_size: 32
  - .args:
      - .address_space:  global
        .offset:         0
        .size:           8
        .value_kind:     global_buffer
      - .address_space:  global
        .offset:         8
        .size:           8
        .value_kind:     global_buffer
    .group_segment_fixed_size: 1024
    .kernarg_segment_align: 8
    .kernarg_segment_size: 16
    .language:       OpenCL C
    .language_version:
      - 2
      - 0
    .max_flat_workgroup_size: 256
    .name:           _Z6kernelI4downiLj256ELj4ELj100EEvPKT0_PS1_
    .private_segment_fixed_size: 0
    .sgpr_count:     9
    .sgpr_spill_count: 0
    .symbol:         _Z6kernelI4downiLj256ELj4ELj100EEvPKT0_PS1_.kd
    .uniform_work_group_size: 1
    .uses_dynamic_stack: false
    .vgpr_count:     12
    .vgpr_spill_count: 0
    .wavefront_size: 32
  - .args:
      - .address_space:  global
        .offset:         0
        .size:           8
        .value_kind:     global_buffer
      - .address_space:  global
        .offset:         8
        .size:           8
        .value_kind:     global_buffer
    .group_segment_fixed_size: 1024
    .kernarg_segment_align: 8
    .kernarg_segment_size: 16
    .language:       OpenCL C
    .language_version:
      - 2
      - 0
    .max_flat_workgroup_size: 256
    .name:           _Z6kernelI4downiLj256ELj8ELj100EEvPKT0_PS1_
    .private_segment_fixed_size: 0
    .sgpr_count:     9
    .sgpr_spill_count: 0
    .symbol:         _Z6kernelI4downiLj256ELj8ELj100EEvPKT0_PS1_.kd
    .uniform_work_group_size: 1
    .uses_dynamic_stack: false
    .vgpr_count:     16
    .vgpr_spill_count: 0
    .wavefront_size: 32
  - .args:
      - .address_space:  global
        .offset:         0
        .size:           8
        .value_kind:     global_buffer
      - .address_space:  global
        .offset:         8
        .size:           8
        .value_kind:     global_buffer
    .group_segment_fixed_size: 1024
    .kernarg_segment_align: 8
    .kernarg_segment_size: 16
    .language:       OpenCL C
    .language_version:
      - 2
      - 0
    .max_flat_workgroup_size: 256
    .name:           _Z6kernelI4downiLj256ELj16ELj100EEvPKT0_PS1_
    .private_segment_fixed_size: 0
    .sgpr_count:     9
    .sgpr_spill_count: 0
    .symbol:         _Z6kernelI4downiLj256ELj16ELj100EEvPKT0_PS1_.kd
    .uniform_work_group_size: 1
    .uses_dynamic_stack: false
    .vgpr_count:     36
    .vgpr_spill_count: 0
    .wavefront_size: 32
  - .args:
      - .address_space:  global
        .offset:         0
        .size:           8
        .value_kind:     global_buffer
      - .address_space:  global
        .offset:         8
        .size:           8
        .value_kind:     global_buffer
    .group_segment_fixed_size: 1024
    .kernarg_segment_align: 8
    .kernarg_segment_size: 16
    .language:       OpenCL C
    .language_version:
      - 2
      - 0
    .max_flat_workgroup_size: 256
    .name:           _Z6kernelI4downiLj256ELj32ELj100EEvPKT0_PS1_
    .private_segment_fixed_size: 0
    .sgpr_count:     9
    .sgpr_spill_count: 0
    .symbol:         _Z6kernelI4downiLj256ELj32ELj100EEvPKT0_PS1_.kd
    .uniform_work_group_size: 1
    .uses_dynamic_stack: false
    .vgpr_count:     68
    .vgpr_spill_count: 0
    .wavefront_size: 32
  - .args:
      - .address_space:  global
        .offset:         0
        .size:           8
        .value_kind:     global_buffer
      - .address_space:  global
        .offset:         8
        .size:           8
        .value_kind:     global_buffer
    .group_segment_fixed_size: 1024
    .kernarg_segment_align: 8
    .kernarg_segment_size: 16
    .language:       OpenCL C
    .language_version:
      - 2
      - 0
    .max_flat_workgroup_size: 256
    .name:           _Z6kernelI4downfLj256ELj1ELj100EEvPKT0_PS1_
    .private_segment_fixed_size: 0
    .sgpr_count:     9
    .sgpr_spill_count: 0
    .symbol:         _Z6kernelI4downfLj256ELj1ELj100EEvPKT0_PS1_.kd
    .uniform_work_group_size: 1
    .uses_dynamic_stack: false
    .vgpr_count:     5
    .vgpr_spill_count: 0
    .wavefront_size: 32
  - .args:
      - .address_space:  global
        .offset:         0
        .size:           8
        .value_kind:     global_buffer
      - .address_space:  global
        .offset:         8
        .size:           8
        .value_kind:     global_buffer
    .group_segment_fixed_size: 1024
    .kernarg_segment_align: 8
    .kernarg_segment_size: 16
    .language:       OpenCL C
    .language_version:
      - 2
      - 0
    .max_flat_workgroup_size: 256
    .name:           _Z6kernelI4downfLj256ELj3ELj100EEvPKT0_PS1_
    .private_segment_fixed_size: 0
    .sgpr_count:     9
    .sgpr_spill_count: 0
    .symbol:         _Z6kernelI4downfLj256ELj3ELj100EEvPKT0_PS1_.kd
    .uniform_work_group_size: 1
    .uses_dynamic_stack: false
    .vgpr_count:     11
    .vgpr_spill_count: 0
    .wavefront_size: 32
  - .args:
      - .address_space:  global
        .offset:         0
        .size:           8
        .value_kind:     global_buffer
      - .address_space:  global
        .offset:         8
        .size:           8
        .value_kind:     global_buffer
    .group_segment_fixed_size: 1024
    .kernarg_segment_align: 8
    .kernarg_segment_size: 16
    .language:       OpenCL C
    .language_version:
      - 2
      - 0
    .max_flat_workgroup_size: 256
    .name:           _Z6kernelI4downfLj256ELj4ELj100EEvPKT0_PS1_
    .private_segment_fixed_size: 0
    .sgpr_count:     9
    .sgpr_spill_count: 0
    .symbol:         _Z6kernelI4downfLj256ELj4ELj100EEvPKT0_PS1_.kd
    .uniform_work_group_size: 1
    .uses_dynamic_stack: false
    .vgpr_count:     10
    .vgpr_spill_count: 0
    .wavefront_size: 32
  - .args:
      - .address_space:  global
        .offset:         0
        .size:           8
        .value_kind:     global_buffer
      - .address_space:  global
        .offset:         8
        .size:           8
        .value_kind:     global_buffer
    .group_segment_fixed_size: 1024
    .kernarg_segment_align: 8
    .kernarg_segment_size: 16
    .language:       OpenCL C
    .language_version:
      - 2
      - 0
    .max_flat_workgroup_size: 256
    .name:           _Z6kernelI4downfLj256ELj8ELj100EEvPKT0_PS1_
    .private_segment_fixed_size: 0
    .sgpr_count:     9
    .sgpr_spill_count: 0
    .symbol:         _Z6kernelI4downfLj256ELj8ELj100EEvPKT0_PS1_.kd
    .uniform_work_group_size: 1
    .uses_dynamic_stack: false
    .vgpr_count:     16
    .vgpr_spill_count: 0
    .wavefront_size: 32
  - .args:
      - .address_space:  global
        .offset:         0
        .size:           8
        .value_kind:     global_buffer
      - .address_space:  global
        .offset:         8
        .size:           8
        .value_kind:     global_buffer
    .group_segment_fixed_size: 1024
    .kernarg_segment_align: 8
    .kernarg_segment_size: 16
    .language:       OpenCL C
    .language_version:
      - 2
      - 0
    .max_flat_workgroup_size: 256
    .name:           _Z6kernelI4downfLj256ELj16ELj100EEvPKT0_PS1_
    .private_segment_fixed_size: 0
    .sgpr_count:     9
    .sgpr_spill_count: 0
    .symbol:         _Z6kernelI4downfLj256ELj16ELj100EEvPKT0_PS1_.kd
    .uniform_work_group_size: 1
    .uses_dynamic_stack: false
    .vgpr_count:     36
    .vgpr_spill_count: 0
    .wavefront_size: 32
  - .args:
      - .address_space:  global
        .offset:         0
        .size:           8
        .value_kind:     global_buffer
      - .address_space:  global
        .offset:         8
        .size:           8
        .value_kind:     global_buffer
    .group_segment_fixed_size: 1024
    .kernarg_segment_align: 8
    .kernarg_segment_size: 16
    .language:       OpenCL C
    .language_version:
      - 2
      - 0
    .max_flat_workgroup_size: 256
    .name:           _Z6kernelI4downfLj256ELj32ELj100EEvPKT0_PS1_
    .private_segment_fixed_size: 0
    .sgpr_count:     9
    .sgpr_spill_count: 0
    .symbol:         _Z6kernelI4downfLj256ELj32ELj100EEvPKT0_PS1_.kd
    .uniform_work_group_size: 1
    .uses_dynamic_stack: false
    .vgpr_count:     68
    .vgpr_spill_count: 0
    .wavefront_size: 32
  - .args:
      - .address_space:  global
        .offset:         0
        .size:           8
        .value_kind:     global_buffer
      - .address_space:  global
        .offset:         8
        .size:           8
        .value_kind:     global_buffer
    .group_segment_fixed_size: 2048
    .kernarg_segment_align: 8
    .kernarg_segment_size: 16
    .language:       OpenCL C
    .language_version:
      - 2
      - 0
    .max_flat_workgroup_size: 256
    .name:           _Z6kernelI4downdLj256ELj1ELj100EEvPKT0_PS1_
    .private_segment_fixed_size: 0
    .sgpr_count:     9
    .sgpr_spill_count: 0
    .symbol:         _Z6kernelI4downdLj256ELj1ELj100EEvPKT0_PS1_.kd
    .uniform_work_group_size: 1
    .uses_dynamic_stack: false
    .vgpr_count:     6
    .vgpr_spill_count: 0
    .wavefront_size: 32
  - .args:
      - .address_space:  global
        .offset:         0
        .size:           8
        .value_kind:     global_buffer
      - .address_space:  global
        .offset:         8
        .size:           8
        .value_kind:     global_buffer
    .group_segment_fixed_size: 2048
    .kernarg_segment_align: 8
    .kernarg_segment_size: 16
    .language:       OpenCL C
    .language_version:
      - 2
      - 0
    .max_flat_workgroup_size: 256
    .name:           _Z6kernelI4downdLj256ELj3ELj100EEvPKT0_PS1_
    .private_segment_fixed_size: 0
    .sgpr_count:     9
    .sgpr_spill_count: 0
    .symbol:         _Z6kernelI4downdLj256ELj3ELj100EEvPKT0_PS1_.kd
    .uniform_work_group_size: 1
    .uses_dynamic_stack: false
    .vgpr_count:     15
    .vgpr_spill_count: 0
    .wavefront_size: 32
  - .args:
      - .address_space:  global
        .offset:         0
        .size:           8
        .value_kind:     global_buffer
      - .address_space:  global
        .offset:         8
        .size:           8
        .value_kind:     global_buffer
    .group_segment_fixed_size: 2048
    .kernarg_segment_align: 8
    .kernarg_segment_size: 16
    .language:       OpenCL C
    .language_version:
      - 2
      - 0
    .max_flat_workgroup_size: 256
    .name:           _Z6kernelI4downdLj256ELj4ELj100EEvPKT0_PS1_
    .private_segment_fixed_size: 0
    .sgpr_count:     9
    .sgpr_spill_count: 0
    .symbol:         _Z6kernelI4downdLj256ELj4ELj100EEvPKT0_PS1_.kd
    .uniform_work_group_size: 1
    .uses_dynamic_stack: false
    .vgpr_count:     14
    .vgpr_spill_count: 0
    .wavefront_size: 32
  - .args:
      - .address_space:  global
        .offset:         0
        .size:           8
        .value_kind:     global_buffer
      - .address_space:  global
        .offset:         8
        .size:           8
        .value_kind:     global_buffer
    .group_segment_fixed_size: 2048
    .kernarg_segment_align: 8
    .kernarg_segment_size: 16
    .language:       OpenCL C
    .language_version:
      - 2
      - 0
    .max_flat_workgroup_size: 256
    .name:           _Z6kernelI4downdLj256ELj8ELj100EEvPKT0_PS1_
    .private_segment_fixed_size: 0
    .sgpr_count:     9
    .sgpr_spill_count: 0
    .symbol:         _Z6kernelI4downdLj256ELj8ELj100EEvPKT0_PS1_.kd
    .uniform_work_group_size: 1
    .uses_dynamic_stack: false
    .vgpr_count:     22
    .vgpr_spill_count: 0
    .wavefront_size: 32
  - .args:
      - .address_space:  global
        .offset:         0
        .size:           8
        .value_kind:     global_buffer
      - .address_space:  global
        .offset:         8
        .size:           8
        .value_kind:     global_buffer
    .group_segment_fixed_size: 2048
    .kernarg_segment_align: 8
    .kernarg_segment_size: 16
    .language:       OpenCL C
    .language_version:
      - 2
      - 0
    .max_flat_workgroup_size: 256
    .name:           _Z6kernelI4downdLj256ELj16ELj100EEvPKT0_PS1_
    .private_segment_fixed_size: 0
    .sgpr_count:     9
    .sgpr_spill_count: 0
    .symbol:         _Z6kernelI4downdLj256ELj16ELj100EEvPKT0_PS1_.kd
    .uniform_work_group_size: 1
    .uses_dynamic_stack: false
    .vgpr_count:     38
    .vgpr_spill_count: 0
    .wavefront_size: 32
  - .args:
      - .address_space:  global
        .offset:         0
        .size:           8
        .value_kind:     global_buffer
      - .address_space:  global
        .offset:         8
        .size:           8
        .value_kind:     global_buffer
    .group_segment_fixed_size: 2048
    .kernarg_segment_align: 8
    .kernarg_segment_size: 16
    .language:       OpenCL C
    .language_version:
      - 2
      - 0
    .max_flat_workgroup_size: 256
    .name:           _Z6kernelI4downdLj256ELj32ELj100EEvPKT0_PS1_
    .private_segment_fixed_size: 0
    .sgpr_count:     9
    .sgpr_spill_count: 0
    .symbol:         _Z6kernelI4downdLj256ELj32ELj100EEvPKT0_PS1_.kd
    .uniform_work_group_size: 1
    .uses_dynamic_stack: false
    .vgpr_count:     70
    .vgpr_spill_count: 0
    .wavefront_size: 32
  - .args:
      - .address_space:  global
        .offset:         0
        .size:           8
        .value_kind:     global_buffer
      - .address_space:  global
        .offset:         8
        .size:           8
        .value_kind:     global_buffer
    .group_segment_fixed_size: 256
    .kernarg_segment_align: 8
    .kernarg_segment_size: 16
    .language:       OpenCL C
    .language_version:
      - 2
      - 0
    .max_flat_workgroup_size: 256
    .name:           _Z6kernelI4downaLj256ELj1ELj100EEvPKT0_PS1_
    .private_segment_fixed_size: 0
    .sgpr_count:     9
    .sgpr_spill_count: 0
    .symbol:         _Z6kernelI4downaLj256ELj1ELj100EEvPKT0_PS1_.kd
    .uniform_work_group_size: 1
    .uses_dynamic_stack: false
    .vgpr_count:     4
    .vgpr_spill_count: 0
    .wavefront_size: 32
  - .args:
      - .address_space:  global
        .offset:         0
        .size:           8
        .value_kind:     global_buffer
      - .address_space:  global
        .offset:         8
        .size:           8
        .value_kind:     global_buffer
    .group_segment_fixed_size: 256
    .kernarg_segment_align: 8
    .kernarg_segment_size: 16
    .language:       OpenCL C
    .language_version:
      - 2
      - 0
    .max_flat_workgroup_size: 256
    .name:           _Z6kernelI4downaLj256ELj3ELj100EEvPKT0_PS1_
    .private_segment_fixed_size: 0
    .sgpr_count:     9
    .sgpr_spill_count: 0
    .symbol:         _Z6kernelI4downaLj256ELj3ELj100EEvPKT0_PS1_.kd
    .uniform_work_group_size: 1
    .uses_dynamic_stack: false
    .vgpr_count:     10
    .vgpr_spill_count: 0
    .wavefront_size: 32
  - .args:
      - .address_space:  global
        .offset:         0
        .size:           8
        .value_kind:     global_buffer
      - .address_space:  global
        .offset:         8
        .size:           8
        .value_kind:     global_buffer
    .group_segment_fixed_size: 256
    .kernarg_segment_align: 8
    .kernarg_segment_size: 16
    .language:       OpenCL C
    .language_version:
      - 2
      - 0
    .max_flat_workgroup_size: 256
    .name:           _Z6kernelI4downaLj256ELj4ELj100EEvPKT0_PS1_
    .private_segment_fixed_size: 0
    .sgpr_count:     9
    .sgpr_spill_count: 0
    .symbol:         _Z6kernelI4downaLj256ELj4ELj100EEvPKT0_PS1_.kd
    .uniform_work_group_size: 1
    .uses_dynamic_stack: false
    .vgpr_count:     5
    .vgpr_spill_count: 0
    .wavefront_size: 32
  - .args:
      - .address_space:  global
        .offset:         0
        .size:           8
        .value_kind:     global_buffer
      - .address_space:  global
        .offset:         8
        .size:           8
        .value_kind:     global_buffer
    .group_segment_fixed_size: 256
    .kernarg_segment_align: 8
    .kernarg_segment_size: 16
    .language:       OpenCL C
    .language_version:
      - 2
      - 0
    .max_flat_workgroup_size: 256
    .name:           _Z6kernelI4downaLj256ELj8ELj100EEvPKT0_PS1_
    .private_segment_fixed_size: 0
    .sgpr_count:     9
    .sgpr_spill_count: 0
    .symbol:         _Z6kernelI4downaLj256ELj8ELj100EEvPKT0_PS1_.kd
    .uniform_work_group_size: 1
    .uses_dynamic_stack: false
    .vgpr_count:     6
    .vgpr_spill_count: 0
    .wavefront_size: 32
  - .args:
      - .address_space:  global
        .offset:         0
        .size:           8
        .value_kind:     global_buffer
      - .address_space:  global
        .offset:         8
        .size:           8
        .value_kind:     global_buffer
    .group_segment_fixed_size: 256
    .kernarg_segment_align: 8
    .kernarg_segment_size: 16
    .language:       OpenCL C
    .language_version:
      - 2
      - 0
    .max_flat_workgroup_size: 256
    .name:           _Z6kernelI4downaLj256ELj16ELj100EEvPKT0_PS1_
    .private_segment_fixed_size: 0
    .sgpr_count:     9
    .sgpr_spill_count: 0
    .symbol:         _Z6kernelI4downaLj256ELj16ELj100EEvPKT0_PS1_.kd
    .uniform_work_group_size: 1
    .uses_dynamic_stack: false
    .vgpr_count:     9
    .vgpr_spill_count: 0
    .wavefront_size: 32
  - .args:
      - .address_space:  global
        .offset:         0
        .size:           8
        .value_kind:     global_buffer
      - .address_space:  global
        .offset:         8
        .size:           8
        .value_kind:     global_buffer
    .group_segment_fixed_size: 256
    .kernarg_segment_align: 8
    .kernarg_segment_size: 16
    .language:       OpenCL C
    .language_version:
      - 2
      - 0
    .max_flat_workgroup_size: 256
    .name:           _Z6kernelI4downaLj256ELj32ELj100EEvPKT0_PS1_
    .private_segment_fixed_size: 0
    .sgpr_count:     9
    .sgpr_spill_count: 0
    .symbol:         _Z6kernelI4downaLj256ELj32ELj100EEvPKT0_PS1_.kd
    .uniform_work_group_size: 1
    .uses_dynamic_stack: false
    .vgpr_count:     17
    .vgpr_spill_count: 0
    .wavefront_size: 32
  - .args:
      - .address_space:  global
        .offset:         0
        .size:           8
        .value_kind:     global_buffer
      - .address_space:  global
        .offset:         8
        .size:           8
        .value_kind:     global_buffer
    .group_segment_fixed_size: 2048
    .kernarg_segment_align: 8
    .kernarg_segment_size: 16
    .language:       OpenCL C
    .language_version:
      - 2
      - 0
    .max_flat_workgroup_size: 256
    .name:           _Z6kernelI4downxLj256ELj1ELj100EEvPKT0_PS1_
    .private_segment_fixed_size: 0
    .sgpr_count:     9
    .sgpr_spill_count: 0
    .symbol:         _Z6kernelI4downxLj256ELj1ELj100EEvPKT0_PS1_.kd
    .uniform_work_group_size: 1
    .uses_dynamic_stack: false
    .vgpr_count:     6
    .vgpr_spill_count: 0
    .wavefront_size: 32
  - .args:
      - .address_space:  global
        .offset:         0
        .size:           8
        .value_kind:     global_buffer
      - .address_space:  global
        .offset:         8
        .size:           8
        .value_kind:     global_buffer
    .group_segment_fixed_size: 2048
    .kernarg_segment_align: 8
    .kernarg_segment_size: 16
    .language:       OpenCL C
    .language_version:
      - 2
      - 0
    .max_flat_workgroup_size: 256
    .name:           _Z6kernelI4downxLj256ELj3ELj100EEvPKT0_PS1_
    .private_segment_fixed_size: 0
    .sgpr_count:     9
    .sgpr_spill_count: 0
    .symbol:         _Z6kernelI4downxLj256ELj3ELj100EEvPKT0_PS1_.kd
    .uniform_work_group_size: 1
    .uses_dynamic_stack: false
    .vgpr_count:     15
    .vgpr_spill_count: 0
    .wavefront_size: 32
  - .args:
      - .address_space:  global
        .offset:         0
        .size:           8
        .value_kind:     global_buffer
      - .address_space:  global
        .offset:         8
        .size:           8
        .value_kind:     global_buffer
    .group_segment_fixed_size: 2048
    .kernarg_segment_align: 8
    .kernarg_segment_size: 16
    .language:       OpenCL C
    .language_version:
      - 2
      - 0
    .max_flat_workgroup_size: 256
    .name:           _Z6kernelI4downxLj256ELj4ELj100EEvPKT0_PS1_
    .private_segment_fixed_size: 0
    .sgpr_count:     9
    .sgpr_spill_count: 0
    .symbol:         _Z6kernelI4downxLj256ELj4ELj100EEvPKT0_PS1_.kd
    .uniform_work_group_size: 1
    .uses_dynamic_stack: false
    .vgpr_count:     14
    .vgpr_spill_count: 0
    .wavefront_size: 32
  - .args:
      - .address_space:  global
        .offset:         0
        .size:           8
        .value_kind:     global_buffer
      - .address_space:  global
        .offset:         8
        .size:           8
        .value_kind:     global_buffer
    .group_segment_fixed_size: 2048
    .kernarg_segment_align: 8
    .kernarg_segment_size: 16
    .language:       OpenCL C
    .language_version:
      - 2
      - 0
    .max_flat_workgroup_size: 256
    .name:           _Z6kernelI4downxLj256ELj8ELj100EEvPKT0_PS1_
    .private_segment_fixed_size: 0
    .sgpr_count:     9
    .sgpr_spill_count: 0
    .symbol:         _Z6kernelI4downxLj256ELj8ELj100EEvPKT0_PS1_.kd
    .uniform_work_group_size: 1
    .uses_dynamic_stack: false
    .vgpr_count:     22
    .vgpr_spill_count: 0
    .wavefront_size: 32
  - .args:
      - .address_space:  global
        .offset:         0
        .size:           8
        .value_kind:     global_buffer
      - .address_space:  global
        .offset:         8
        .size:           8
        .value_kind:     global_buffer
    .group_segment_fixed_size: 2048
    .kernarg_segment_align: 8
    .kernarg_segment_size: 16
    .language:       OpenCL C
    .language_version:
      - 2
      - 0
    .max_flat_workgroup_size: 256
    .name:           _Z6kernelI4downxLj256ELj16ELj100EEvPKT0_PS1_
    .private_segment_fixed_size: 0
    .sgpr_count:     9
    .sgpr_spill_count: 0
    .symbol:         _Z6kernelI4downxLj256ELj16ELj100EEvPKT0_PS1_.kd
    .uniform_work_group_size: 1
    .uses_dynamic_stack: false
    .vgpr_count:     38
    .vgpr_spill_count: 0
    .wavefront_size: 32
  - .args:
      - .address_space:  global
        .offset:         0
        .size:           8
        .value_kind:     global_buffer
      - .address_space:  global
        .offset:         8
        .size:           8
        .value_kind:     global_buffer
    .group_segment_fixed_size: 2048
    .kernarg_segment_align: 8
    .kernarg_segment_size: 16
    .language:       OpenCL C
    .language_version:
      - 2
      - 0
    .max_flat_workgroup_size: 256
    .name:           _Z6kernelI4downxLj256ELj32ELj100EEvPKT0_PS1_
    .private_segment_fixed_size: 0
    .sgpr_count:     9
    .sgpr_spill_count: 0
    .symbol:         _Z6kernelI4downxLj256ELj32ELj100EEvPKT0_PS1_.kd
    .uniform_work_group_size: 1
    .uses_dynamic_stack: false
    .vgpr_count:     70
    .vgpr_spill_count: 0
    .wavefront_size: 32
  - .args:
      - .address_space:  global
        .offset:         0
        .size:           8
        .value_kind:     global_buffer
      - .address_space:  global
        .offset:         8
        .size:           8
        .value_kind:     global_buffer
    .group_segment_fixed_size: 2048
    .kernarg_segment_align: 8
    .kernarg_segment_size: 16
    .language:       OpenCL C
    .language_version:
      - 2
      - 0
    .max_flat_workgroup_size: 256
    .name:           _Z6kernelI4downN15benchmark_utils11custom_typeIffEELj256ELj1ELj100EEvPKT0_PS4_
    .private_segment_fixed_size: 0
    .sgpr_count:     9
    .sgpr_spill_count: 0
    .symbol:         _Z6kernelI4downN15benchmark_utils11custom_typeIffEELj256ELj1ELj100EEvPKT0_PS4_.kd
    .uniform_work_group_size: 1
    .uses_dynamic_stack: false
    .vgpr_count:     6
    .vgpr_spill_count: 0
    .wavefront_size: 32
  - .args:
      - .address_space:  global
        .offset:         0
        .size:           8
        .value_kind:     global_buffer
      - .address_space:  global
        .offset:         8
        .size:           8
        .value_kind:     global_buffer
    .group_segment_fixed_size: 2048
    .kernarg_segment_align: 8
    .kernarg_segment_size: 16
    .language:       OpenCL C
    .language_version:
      - 2
      - 0
    .max_flat_workgroup_size: 256
    .name:           _Z6kernelI4downN15benchmark_utils11custom_typeIffEELj256ELj3ELj100EEvPKT0_PS4_
    .private_segment_fixed_size: 0
    .sgpr_count:     9
    .sgpr_spill_count: 0
    .symbol:         _Z6kernelI4downN15benchmark_utils11custom_typeIffEELj256ELj3ELj100EEvPKT0_PS4_.kd
    .uniform_work_group_size: 1
    .uses_dynamic_stack: false
    .vgpr_count:     15
    .vgpr_spill_count: 0
    .wavefront_size: 32
  - .args:
      - .address_space:  global
        .offset:         0
        .size:           8
        .value_kind:     global_buffer
      - .address_space:  global
        .offset:         8
        .size:           8
        .value_kind:     global_buffer
    .group_segment_fixed_size: 2048
    .kernarg_segment_align: 8
    .kernarg_segment_size: 16
    .language:       OpenCL C
    .language_version:
      - 2
      - 0
    .max_flat_workgroup_size: 256
    .name:           _Z6kernelI4downN15benchmark_utils11custom_typeIffEELj256ELj4ELj100EEvPKT0_PS4_
    .private_segment_fixed_size: 0
    .sgpr_count:     9
    .sgpr_spill_count: 0
    .symbol:         _Z6kernelI4downN15benchmark_utils11custom_typeIffEELj256ELj4ELj100EEvPKT0_PS4_.kd
    .uniform_work_group_size: 1
    .uses_dynamic_stack: false
    .vgpr_count:     14
    .vgpr_spill_count: 0
    .wavefront_size: 32
  - .args:
      - .address_space:  global
        .offset:         0
        .size:           8
        .value_kind:     global_buffer
      - .address_space:  global
        .offset:         8
        .size:           8
        .value_kind:     global_buffer
    .group_segment_fixed_size: 2048
    .kernarg_segment_align: 8
    .kernarg_segment_size: 16
    .language:       OpenCL C
    .language_version:
      - 2
      - 0
    .max_flat_workgroup_size: 256
    .name:           _Z6kernelI4downN15benchmark_utils11custom_typeIffEELj256ELj8ELj100EEvPKT0_PS4_
    .private_segment_fixed_size: 0
    .sgpr_count:     9
    .sgpr_spill_count: 0
    .symbol:         _Z6kernelI4downN15benchmark_utils11custom_typeIffEELj256ELj8ELj100EEvPKT0_PS4_.kd
    .uniform_work_group_size: 1
    .uses_dynamic_stack: false
    .vgpr_count:     24
    .vgpr_spill_count: 0
    .wavefront_size: 32
  - .args:
      - .address_space:  global
        .offset:         0
        .size:           8
        .value_kind:     global_buffer
      - .address_space:  global
        .offset:         8
        .size:           8
        .value_kind:     global_buffer
    .group_segment_fixed_size: 2048
    .kernarg_segment_align: 8
    .kernarg_segment_size: 16
    .language:       OpenCL C
    .language_version:
      - 2
      - 0
    .max_flat_workgroup_size: 256
    .name:           _Z6kernelI4downN15benchmark_utils11custom_typeIffEELj256ELj16ELj100EEvPKT0_PS4_
    .private_segment_fixed_size: 0
    .sgpr_count:     9
    .sgpr_spill_count: 0
    .symbol:         _Z6kernelI4downN15benchmark_utils11custom_typeIffEELj256ELj16ELj100EEvPKT0_PS4_.kd
    .uniform_work_group_size: 1
    .uses_dynamic_stack: false
    .vgpr_count:     38
    .vgpr_spill_count: 0
    .wavefront_size: 32
  - .args:
      - .address_space:  global
        .offset:         0
        .size:           8
        .value_kind:     global_buffer
      - .address_space:  global
        .offset:         8
        .size:           8
        .value_kind:     global_buffer
    .group_segment_fixed_size: 2048
    .kernarg_segment_align: 8
    .kernarg_segment_size: 16
    .language:       OpenCL C
    .language_version:
      - 2
      - 0
    .max_flat_workgroup_size: 256
    .name:           _Z6kernelI4downN15benchmark_utils11custom_typeIffEELj256ELj32ELj100EEvPKT0_PS4_
    .private_segment_fixed_size: 0
    .sgpr_count:     9
    .sgpr_spill_count: 0
    .symbol:         _Z6kernelI4downN15benchmark_utils11custom_typeIffEELj256ELj32ELj100EEvPKT0_PS4_.kd
    .uniform_work_group_size: 1
    .uses_dynamic_stack: false
    .vgpr_count:     70
    .vgpr_spill_count: 0
    .wavefront_size: 32
  - .args:
      - .address_space:  global
        .offset:         0
        .size:           8
        .value_kind:     global_buffer
      - .address_space:  global
        .offset:         8
        .size:           8
        .value_kind:     global_buffer
    .group_segment_fixed_size: 4096
    .kernarg_segment_align: 8
    .kernarg_segment_size: 16
    .language:       OpenCL C
    .language_version:
      - 2
      - 0
    .max_flat_workgroup_size: 256
    .name:           _Z6kernelI4downN15benchmark_utils11custom_typeIddEELj256ELj1ELj100EEvPKT0_PS4_
    .private_segment_fixed_size: 0
    .sgpr_count:     9
    .sgpr_spill_count: 0
    .symbol:         _Z6kernelI4downN15benchmark_utils11custom_typeIddEELj256ELj1ELj100EEvPKT0_PS4_.kd
    .uniform_work_group_size: 1
    .uses_dynamic_stack: false
    .vgpr_count:     8
    .vgpr_spill_count: 0
    .wavefront_size: 32
  - .args:
      - .address_space:  global
        .offset:         0
        .size:           8
        .value_kind:     global_buffer
      - .address_space:  global
        .offset:         8
        .size:           8
        .value_kind:     global_buffer
    .group_segment_fixed_size: 4096
    .kernarg_segment_align: 8
    .kernarg_segment_size: 16
    .language:       OpenCL C
    .language_version:
      - 2
      - 0
    .max_flat_workgroup_size: 256
    .name:           _Z6kernelI4downN15benchmark_utils11custom_typeIddEELj256ELj3ELj100EEvPKT0_PS4_
    .private_segment_fixed_size: 0
    .sgpr_count:     9
    .sgpr_spill_count: 0
    .symbol:         _Z6kernelI4downN15benchmark_utils11custom_typeIddEELj256ELj3ELj100EEvPKT0_PS4_.kd
    .uniform_work_group_size: 1
    .uses_dynamic_stack: false
    .vgpr_count:     24
    .vgpr_spill_count: 0
    .wavefront_size: 32
  - .args:
      - .address_space:  global
        .offset:         0
        .size:           8
        .value_kind:     global_buffer
      - .address_space:  global
        .offset:         8
        .size:           8
        .value_kind:     global_buffer
    .group_segment_fixed_size: 4096
    .kernarg_segment_align: 8
    .kernarg_segment_size: 16
    .language:       OpenCL C
    .language_version:
      - 2
      - 0
    .max_flat_workgroup_size: 256
    .name:           _Z6kernelI4downN15benchmark_utils11custom_typeIddEELj256ELj4ELj100EEvPKT0_PS4_
    .private_segment_fixed_size: 0
    .sgpr_count:     9
    .sgpr_spill_count: 0
    .symbol:         _Z6kernelI4downN15benchmark_utils11custom_typeIddEELj256ELj4ELj100EEvPKT0_PS4_.kd
    .uniform_work_group_size: 1
    .uses_dynamic_stack: false
    .vgpr_count:     24
    .vgpr_spill_count: 0
    .wavefront_size: 32
  - .args:
      - .address_space:  global
        .offset:         0
        .size:           8
        .value_kind:     global_buffer
      - .address_space:  global
        .offset:         8
        .size:           8
        .value_kind:     global_buffer
    .group_segment_fixed_size: 4096
    .kernarg_segment_align: 8
    .kernarg_segment_size: 16
    .language:       OpenCL C
    .language_version:
      - 2
      - 0
    .max_flat_workgroup_size: 256
    .name:           _Z6kernelI4downN15benchmark_utils11custom_typeIddEELj256ELj8ELj100EEvPKT0_PS4_
    .private_segment_fixed_size: 0
    .sgpr_count:     9
    .sgpr_spill_count: 0
    .symbol:         _Z6kernelI4downN15benchmark_utils11custom_typeIddEELj256ELj8ELj100EEvPKT0_PS4_.kd
    .uniform_work_group_size: 1
    .uses_dynamic_stack: false
    .vgpr_count:     40
    .vgpr_spill_count: 0
    .wavefront_size: 32
  - .args:
      - .address_space:  global
        .offset:         0
        .size:           8
        .value_kind:     global_buffer
      - .address_space:  global
        .offset:         8
        .size:           8
        .value_kind:     global_buffer
    .group_segment_fixed_size: 4096
    .kernarg_segment_align: 8
    .kernarg_segment_size: 16
    .language:       OpenCL C
    .language_version:
      - 2
      - 0
    .max_flat_workgroup_size: 256
    .name:           _Z6kernelI4downN15benchmark_utils11custom_typeIddEELj256ELj16ELj100EEvPKT0_PS4_
    .private_segment_fixed_size: 0
    .sgpr_count:     9
    .sgpr_spill_count: 0
    .symbol:         _Z6kernelI4downN15benchmark_utils11custom_typeIddEELj256ELj16ELj100EEvPKT0_PS4_.kd
    .uniform_work_group_size: 1
    .uses_dynamic_stack: false
    .vgpr_count:     72
    .vgpr_spill_count: 0
    .wavefront_size: 32
  - .args:
      - .address_space:  global
        .offset:         0
        .size:           8
        .value_kind:     global_buffer
      - .address_space:  global
        .offset:         8
        .size:           8
        .value_kind:     global_buffer
    .group_segment_fixed_size: 4096
    .kernarg_segment_align: 8
    .kernarg_segment_size: 16
    .language:       OpenCL C
    .language_version:
      - 2
      - 0
    .max_flat_workgroup_size: 256
    .name:           _Z6kernelI4downN15benchmark_utils11custom_typeIddEELj256ELj32ELj100EEvPKT0_PS4_
    .private_segment_fixed_size: 0
    .sgpr_count:     9
    .sgpr_spill_count: 0
    .symbol:         _Z6kernelI4downN15benchmark_utils11custom_typeIddEELj256ELj32ELj100EEvPKT0_PS4_.kd
    .uniform_work_group_size: 1
    .uses_dynamic_stack: false
    .vgpr_count:     136
    .vgpr_spill_count: 0
    .wavefront_size: 32
amdhsa.target:   amdgcn-amd-amdhsa--gfx1250
amdhsa.version:
  - 1
  - 2
...

	.end_amdgpu_metadata
